;; amdgpu-corpus repo=ROCm/aiter kind=harvested arch=n/a opt=n/a

/root/src/amdgpu-assembly/repos/ROCm__aiter/hsa/gfx942/allreduce_rmsnorm_qnt_N8192.co:	file format elf64-amdgpu

Disassembly of section .text:

0000000000002400 <allreduce_rmsnorm_qnt_N8192_kernel>:
	s_and_b32 s1, s1, 0xffff                                   // 000000002400: 8601FF01 0000FFFF
	s_load_dwordx2 s[12:13], s[0:1], 0x0                       // 000000002408: C0060300 00000000
	s_load_dwordx2 s[40:41], s[0:1], 0x10                      // 000000002410: C0060A00 00000010
	s_load_dwordx2 s[42:43], s[0:1], 0x20                      // 000000002418: C0060A80 00000020
	s_load_dwordx2 s[44:45], s[0:1], 0x30                      // 000000002420: C0060B00 00000030
	s_load_dwordx2 s[46:47], s[0:1], 0x40                      // 000000002428: C0060B80 00000040
	s_load_dwordx2 s[48:49], s[0:1], 0x50                      // 000000002430: C0060C00 00000050
	s_load_dwordx2 s[50:51], s[0:1], 0x60                      // 000000002438: C0060C80 00000060
	s_load_dwordx2 s[52:53], s[0:1], 0x70                      // 000000002440: C0060D00 00000070
	s_load_dwordx2 s[54:55], s[0:1], 0x80                      // 000000002448: C0060D80 00000080
	s_load_dwordx2 s[16:17], s[0:1], 0x90                      // 000000002450: C0060400 00000090
	s_load_dwordx2 s[58:59], s[0:1], 0xa0                      // 000000002458: C0060E80 000000A0
	s_load_dwordx2 s[20:21], s[0:1], 0xb0                      // 000000002460: C0060500 000000B0
	s_load_dwordx2 s[88:89], s[0:1], 0xc0                      // 000000002468: C0061600 000000C0
	s_load_dword s60, s[0:1], 0xd0                             // 000000002470: C0020F00 000000D0
	s_load_dword s61, s[0:1], 0xe0                             // 000000002478: C0020F40 000000E0
	s_load_dword s62, s[0:1], 0xf0                             // 000000002480: C0020F80 000000F0
	s_load_dword s63, s[0:1], 0x100                            // 000000002488: C0020FC0 00000100
	s_load_dword s92, s[0:1], 0x110                            // 000000002490: C0021700 00000110
	s_load_dword s6, s[0:1], 0x120                             // 000000002498: C0020180 00000120
	v_lshrrev_b32_e32 v1, 10, v0                               // 0000000024A0: 2002008A
	v_lshrrev_b32_e32 v2, 10, v1                               // 0000000024A4: 2004028A
	v_and_b32_e32 v2, 0x3ff, v2                                // 0000000024A8: 260404FF 000003FF
	v_and_b32_e32 v1, 0x3ff, v1                                // 0000000024B0: 260202FF 000003FF
	v_and_b32_e32 v0, 0x3ff, v0                                // 0000000024B8: 260000FF 000003FF
	v_lshrrev_b32_e32 v3, 6, v0                                // 0000000024C0: 20060086
	v_and_b32_e32 v0, 63, v0                                   // 0000000024C4: 260000BF
	s_mov_b32 s2, s2                                           // 0000000024C8: BE820002
	s_mov_b32 s3, s3                                           // 0000000024CC: BE830003
	s_mov_b32 s4, s4                                           // 0000000024D0: BE840004
	v_readfirstlane_b32 s5, v3                                 // 0000000024D4: 7E0A0503
	s_waitcnt lgkmcnt(0)                                       // 0000000024D8: BF8CC07F
	s_and_b32 s13, s13, 0xffff                                 // 0000000024DC: 860DFF0D 0000FFFF
	s_or_b32 s13, s13, 0x40000                                 // 0000000024E4: 870DFF0D 00040000
	s_mov_b32 s14, 0x80000000                                  // 0000000024EC: BE8E00FF 80000000
	s_mov_b32 s15, 0x20000                                     // 0000000024F4: BE8F00FF 00020000
	s_mul_i32 s84, 0x100, s5                                   // 0000000024FC: 925405FF 00000100
	s_mov_b32 m0, s84                                          // 000000002504: BEFC0054
	v_mov_b32_e32 v216, v0                                     // 000000002508: 7FB00300
	buffer_load_dword v216, s[12:15], 0 idxen lds              // 00000000250C: E0512000 800300D8
	s_and_b32 s59, s59, 0xffff                                 // 000000002514: 863BFF3B 0000FFFF
	s_or_b32 s59, s59, 0x40000                                 // 00000000251C: 873BFF3B 00040000
	s_and_b32 s21, s21, 0xffff                                 // 000000002524: 8615FF15 0000FFFF
	s_or_b32 s21, s21, 0x40000                                 // 00000000252C: 8715FF15 00040000
	s_and_b32 s89, s89, 0xffff                                 // 000000002534: 8659FF59 0000FFFF
	s_or_b32 s89, s89, 0x40000                                 // 00000000253C: 8759FF59 00040000
	s_mul_i32 s92, s92, 8                                      // 000000002544: 925C885C
	s_mul_i32 s84, s92, s60                                    // 000000002548: 92543C5C
	s_mul_i32 s85, s2, 8                                       // 00000000254C: 92558802
	s_add_i32 s93, s84, s85                                    // 000000002550: 815D5554
	s_and_b32 s41, s41, 0xffff                                 // 000000002554: 8629FF29 0000FFFF
	s_and_b32 s43, s43, 0xffff                                 // 00000000255C: 862BFF2B 0000FFFF
	s_and_b32 s45, s45, 0xffff                                 // 000000002564: 862DFF2D 0000FFFF
	s_and_b32 s47, s47, 0xffff                                 // 00000000256C: 862FFF2F 0000FFFF
	s_and_b32 s49, s49, 0xffff                                 // 000000002574: 8631FF31 0000FFFF
	s_and_b32 s51, s51, 0xffff                                 // 00000000257C: 8633FF33 0000FFFF
	s_and_b32 s53, s53, 0xffff                                 // 000000002584: 8635FF35 0000FFFF
	s_and_b32 s55, s55, 0xffff                                 // 00000000258C: 8637FF37 0000FFFF
	s_mov_b32 s80, 0xfffffff                                   // 000000002594: BED000FF 0FFFFFFF
	s_cmp_eq_u32 s5, 0                                         // 00000000259C: BF068005
	s_cbranch_scc0 label_007B                                  // 0000000025A0: BF840012
	s_cmp_eq_u32 s2, 0                                         // 0000000025A4: BF068002
	s_cbranch_scc0 label_007B                                  // 0000000025A8: BF840010
	s_atomic_inc s80, s[40:41], s93                            // 0000000025AC: C22C1414 0000005D
	s_atomic_inc s80, s[42:43], s93                            // 0000000025B4: C22C1415 0000005D
	s_atomic_inc s80, s[44:45], s93                            // 0000000025BC: C22C1416 0000005D
	s_atomic_inc s80, s[46:47], s93                            // 0000000025C4: C22C1417 0000005D
	s_atomic_inc s80, s[48:49], s93                            // 0000000025CC: C22C1418 0000005D
	s_atomic_inc s80, s[50:51], s93                            // 0000000025D4: C22C1419 0000005D
	s_atomic_inc s80, s[52:53], s93                            // 0000000025DC: C22C141A 0000005D
	s_atomic_inc s80, s[54:55], s93                            // 0000000025E4: C22C141B 0000005D

00000000000025ec <label_007B>:
	s_mul_i32 s84, 2, s62                                      // 0000000025EC: 92543E82
	s_mul_i32 s84, s2, s84                                     // 0000000025F0: 92545402
	s_mul_i32 s85, 0x400, s5                                   // 0000000025F4: 925505FF 00000400
	s_mul_i32 s86, s61, s60                                    // 0000000025FC: 92563C3D
	v_lshlrev_b32_e32 v220, 4, v0                              // 000000002600: 25B80084
	v_lshlrev_b32_e32 v224, 4, v0                              // 000000002604: 25C00084
	v_lshlrev_b32_e32 v234, 2, v0                              // 000000002608: 25D40082
	v_add_u32_e64 v224, v224, s85                              // 00000000260C: D13400E0 0000ABE0
	v_add_u32_e32 v220, s84, v220                              // 000000002614: 69B9B854
	v_add_u32_e32 v220, s85, v220                              // 000000002618: 69B9B855
	v_add_u32_e32 v220, s86, v220                              // 00000000261C: 69B9B856
	s_add_i32 s84, s84, s85                                    // 000000002620: 81545554
	s_add_i32 s84, s84, s86                                    // 000000002624: 81545654
	s_lshr_b32 s84, s84, 1                                     // 000000002628: 8F548154
	v_lshlrev_b32_e32 v233, 3, v0                              // 00000000262C: 25D20083
	v_add_u32_e64 v233, v233, s84                              // 000000002630: D13400E9 0000A9E9
	v_lshlrev_b32_e32 v231, 5, v0                              // 000000002638: 25CE0085
	s_mul_i32 s86, 0x800, s5                                   // 00000000263C: 925605FF 00000800
	v_add_u32_e64 v231, v231, s86                              // 000000002644: D13400E7 0000ADE7
	v_mov_b32_e32 v232, 0x358637bd                             // 00000000264C: 7FD002FF 358637BD
	s_mov_b32 s85, 0x1000                                      // 000000002654: BED500FF 00001000
	v_add_u32_e64 v221, v220, s85                              // 00000000265C: D13400DD 0000ABDC
	v_add_u32_e64 v225, v224, s85                              // 000000002664: D13400E1 0000ABE0
	v_add_u32_e64 v222, v221, s85                              // 00000000266C: D13400DE 0000ABDD
	v_add_u32_e64 v226, v225, s85                              // 000000002674: D13400E2 0000ABE1
	v_add_u32_e64 v223, v222, s85                              // 00000000267C: D13400DF 0000ABDE
	v_add_u32_e64 v227, v226, s85                              // 000000002684: D13400E3 0000ABE2
	s_mul_i32 s84, 0x100, s5                                   // 00000000268C: 925405FF 00000100
	v_add_u32_e64 v234, v234, s84                              // 000000002694: D13400EA 0000A9EA
	s_and_b32 s17, s17, 0xffff                                 // 00000000269C: 8611FF11 0000FFFF
	s_or_b32 s17, s17, 0x40000                                 // 0000000026A4: 8711FF11 00040000
	s_mov_b32 s18, 0x80000000                                  // 0000000026AC: BE9200FF 80000000
	s_mov_b32 s19, 0x20000                                     // 0000000026B4: BE9300FF 00020000
	buffer_load_dwordx4 v[196:199], v220, s[16:19], 0 offen    // 0000000026BC: E05C1000 8004C4DC
	buffer_load_dwordx4 v[200:203], v221, s[16:19], 0 offen    // 0000000026C4: E05C1000 8004C8DD
	buffer_load_dwordx4 v[204:207], v222, s[16:19], 0 offen    // 0000000026CC: E05C1000 8004CCDE
	buffer_load_dwordx4 v[208:211], v223, s[16:19], 0 offen    // 0000000026D4: E05C1000 8004D0DF
	v_lshlrev_b32_e32 v229, 2, v0                              // 0000000026DC: 25CA0082
	s_mul_i32 s84, 0x100, s5                                   // 0000000026E0: 925405FF 00000100
	v_add_u32_e64 v229, v229, s84                              // 0000000026E8: D13400E5 0000A9E5
	v_lshlrev_b32_e32 v228, 2, v0                              // 0000000026F0: 25C80082
	v_and_b32_e64 v228, v228, 63                               // 0000000026F4: D11300E4 00017FE4
	s_mov_b32 s61, s20                                         // 0000000026FC: BEBD0014
	s_mov_b32 s62, s21                                         // 000000002700: BEBE0015
	s_mov_b32 s10, 0x80000000                                  // 000000002704: BE8A00FF 80000000
	s_mov_b32 s11, 0x20000                                     // 00000000270C: BE8B00FF 00020000
	s_mov_b32 s14, 0x80000000                                  // 000000002714: BE8E00FF 80000000
	s_mov_b32 s15, 0x20000                                     // 00000000271C: BE8F00FF 00020000
	s_mov_b32 s18, 0x80000000                                  // 000000002724: BE9200FF 80000000
	s_mov_b32 s19, 0x20000                                     // 00000000272C: BE9300FF 00020000
	s_mov_b32 s22, 0x80000000                                  // 000000002734: BE9600FF 80000000
	s_mov_b32 s23, 0x20000                                     // 00000000273C: BE9700FF 00020000
	s_mov_b32 s26, 0x80000000                                  // 000000002744: BE9A00FF 80000000
	s_mov_b32 s27, 0x20000                                     // 00000000274C: BE9B00FF 00020000
	s_mov_b32 s30, 0x80000000                                  // 000000002754: BE9E00FF 80000000
	s_mov_b32 s31, 0x20000                                     // 00000000275C: BE9F00FF 00020000
	s_mov_b32 s34, 0x80000000                                  // 000000002764: BEA200FF 80000000
	s_mov_b32 s35, 0x20000                                     // 00000000276C: BEA300FF 00020000
	s_mov_b32 s38, 0x80000000                                  // 000000002774: BEA600FF 80000000
	s_mov_b32 s39, 0x20000                                     // 00000000277C: BEA700FF 00020000
	s_mul_i32 s94, s2, 8                                       // 000000002784: 925E8802
	s_mov_b32 s81, 0xff                                        // 000000002788: BED100FF 000000FF
	s_mov_b32 s82, 1                                           // 000000002790: BED20081
	s_mov_b32 s83, 0x7060302                                   // 000000002794: BED300FF 07060302
	v_mov_b32_e32 v213, 0xffff0000                             // 00000000279C: 7FAA02FF FFFF0000
	v_mov_b32_e32 v214, 0x7fff0000                             // 0000000027A4: 7FAC02FF 7FFF0000
	v_mov_b32_e32 v215, 0x7fff                                 // 0000000027AC: 7FAE02FF 00007FFF
	s_mov_b32 s64, 0                                           // 0000000027B4: BEC00080
	s_mov_b32 s72, 0                                           // 0000000027B8: BEC80080
	s_mov_b32 s65, 0                                           // 0000000027BC: BEC10080
	s_mov_b32 s73, 0                                           // 0000000027C0: BEC90080
	s_mov_b32 s66, 0                                           // 0000000027C4: BEC20080
	s_mov_b32 s74, 0                                           // 0000000027C8: BECA0080
	s_mov_b32 s67, 0                                           // 0000000027CC: BEC30080
	s_mov_b32 s75, 0                                           // 0000000027D0: BECB0080
	s_mov_b32 s68, 0                                           // 0000000027D4: BEC40080
	s_mov_b32 s76, 0                                           // 0000000027D8: BECC0080
	s_mov_b32 s69, 0                                           // 0000000027DC: BEC50080
	s_mov_b32 s77, 0                                           // 0000000027E0: BECD0080
	s_mov_b32 s70, 0                                           // 0000000027E4: BEC60080
	s_mov_b32 s78, 0                                           // 0000000027E8: BECE0080
	s_mov_b32 s71, 0                                           // 0000000027EC: BEC70080
	s_mov_b32 s79, 0                                           // 0000000027F0: BECF0080
	v_mov_b32_e32 v230, 0x39000000                             // 0000000027F4: 7FCC02FF 39000000
	v_mov_b32_e32 v4, 0                                        // 0000000027FC: 7E080280
	v_mov_b32_e32 v5, 0                                        // 000000002800: 7E0A0280
	v_mov_b32_e32 v6, 0                                        // 000000002804: 7E0C0280
	v_mov_b32_e32 v7, 0                                        // 000000002808: 7E0E0280
	v_mov_b32_e32 v8, 0                                        // 00000000280C: 7E100280
	v_mov_b32_e32 v9, 0                                        // 000000002810: 7E120280
	v_mov_b32_e32 v10, 0                                       // 000000002814: 7E140280
	v_mov_b32_e32 v11, 0                                       // 000000002818: 7E160280
	v_mov_b32_e32 v12, 0                                       // 00000000281C: 7E180280
	v_mov_b32_e32 v13, 0                                       // 000000002820: 7E1A0280
	v_mov_b32_e32 v14, 0                                       // 000000002824: 7E1C0280
	v_mov_b32_e32 v15, 0                                       // 000000002828: 7E1E0280
	v_mov_b32_e32 v16, 0                                       // 00000000282C: 7E200280
	v_mov_b32_e32 v17, 0                                       // 000000002830: 7E220280
	v_mov_b32_e32 v18, 0                                       // 000000002834: 7E240280
	v_mov_b32_e32 v19, 0                                       // 000000002838: 7E260280
	v_mov_b32_e32 v20, 0                                       // 00000000283C: 7E280280
	v_mov_b32_e32 v21, 0                                       // 000000002840: 7E2A0280
	v_mov_b32_e32 v22, 0                                       // 000000002844: 7E2C0280
	v_mov_b32_e32 v23, 0                                       // 000000002848: 7E2E0280
	v_mov_b32_e32 v24, 0                                       // 00000000284C: 7E300280
	v_mov_b32_e32 v25, 0                                       // 000000002850: 7E320280
	v_mov_b32_e32 v26, 0                                       // 000000002854: 7E340280
	v_mov_b32_e32 v27, 0                                       // 000000002858: 7E360280
	v_mov_b32_e32 v28, 0                                       // 00000000285C: 7E380280
	v_mov_b32_e32 v29, 0                                       // 000000002860: 7E3A0280
	v_mov_b32_e32 v30, 0                                       // 000000002864: 7E3C0280
	v_mov_b32_e32 v31, 0                                       // 000000002868: 7E3E0280
	v_mov_b32_e32 v32, 0                                       // 00000000286C: 7E400280
	v_mov_b32_e32 v33, 0                                       // 000000002870: 7E420280
	v_mov_b32_e32 v34, 0                                       // 000000002874: 7E440280
	v_mov_b32_e32 v35, 0                                       // 000000002878: 7E460280
	s_mov_b32 s56, s40                                         // 00000000287C: BEB80028
	s_mov_b32 s57, s41                                         // 000000002880: BEB90029
	s_cmp_eq_u32 s60, 0                                        // 000000002884: BF06803C
	s_cselect_b32 s56, s40, s56                                // 000000002888: 85383828
	s_cselect_b32 s57, s41, s57                                // 00000000288C: 85393929
	s_cmp_eq_u32 s60, 1                                        // 000000002890: BF06813C
	s_cselect_b32 s56, s42, s56                                // 000000002894: 8538382A
	s_cselect_b32 s57, s43, s57                                // 000000002898: 8539392B
	s_cmp_eq_u32 s60, 2                                        // 00000000289C: BF06823C
	s_cselect_b32 s56, s44, s56                                // 0000000028A0: 8538382C
	s_cselect_b32 s57, s45, s57                                // 0000000028A4: 8539392D
	s_cmp_eq_u32 s60, 3                                        // 0000000028A8: BF06833C
	s_cselect_b32 s56, s46, s56                                // 0000000028AC: 8538382E
	s_cselect_b32 s57, s47, s57                                // 0000000028B0: 8539392F
	s_cmp_eq_u32 s60, 4                                        // 0000000028B4: BF06843C
	s_cselect_b32 s56, s48, s56                                // 0000000028B8: 85383830
	s_cselect_b32 s57, s49, s57                                // 0000000028BC: 85393931
	s_cmp_eq_u32 s60, 5                                        // 0000000028C0: BF06853C
	s_cselect_b32 s56, s50, s56                                // 0000000028C4: 85383832
	s_cselect_b32 s57, s51, s57                                // 0000000028C8: 85393933
	s_cmp_eq_u32 s60, 6                                        // 0000000028CC: BF06863C
	s_cselect_b32 s56, s52, s56                                // 0000000028D0: 85383834
	s_cselect_b32 s57, s53, s57                                // 0000000028D4: 85393935
	s_cmp_eq_u32 s60, 7                                        // 0000000028D8: BF06873C
	s_cselect_b32 s56, s54, s56                                // 0000000028DC: 85383836
	s_cselect_b32 s57, s55, s57                                // 0000000028E0: 85393937
	s_waitcnt vmcnt(4)                                         // 0000000028E4: BF8C0F74
	ds_read_b32 v235, v234                                     // 0000000028E8: D86C0000 EB0000EA
	s_waitcnt lgkmcnt(0)                                       // 0000000028F0: BF8CC07F
	v_readlane_b32 s9, v235, 1                                 // 0000000028F4: D2890009 000103EB
	v_readlane_b32 s8, v235, 0                                 // 0000000028FC: D2890008 000101EB
	s_and_b32 s9, s9, 0xffff                                   // 000000002904: 8609FF09 0000FFFF
	s_or_b32 s9, s9, 0x40000                                   // 00000000290C: 8709FF09 00040000
	v_readlane_b32 s13, v235, 3                                // 000000002914: D289000D 000107EB
	v_readlane_b32 s12, v235, 2                                // 00000000291C: D289000C 000105EB
	s_and_b32 s13, s13, 0xffff                                 // 000000002924: 860DFF0D 0000FFFF
	s_or_b32 s13, s13, 0x40000                                 // 00000000292C: 870DFF0D 00040000
	v_readlane_b32 s17, v235, 5                                // 000000002934: D2890011 00010BEB
	v_readlane_b32 s16, v235, 4                                // 00000000293C: D2890010 000109EB
	s_and_b32 s17, s17, 0xffff                                 // 000000002944: 8611FF11 0000FFFF
	s_or_b32 s17, s17, 0x40000                                 // 00000000294C: 8711FF11 00040000
	v_readlane_b32 s21, v235, 7                                // 000000002954: D2890015 00010FEB
	v_readlane_b32 s20, v235, 6                                // 00000000295C: D2890014 00010DEB
	s_and_b32 s21, s21, 0xffff                                 // 000000002964: 8615FF15 0000FFFF
	s_or_b32 s21, s21, 0x40000                                 // 00000000296C: 8715FF15 00040000
	v_readlane_b32 s25, v235, 9                                // 000000002974: D2890019 000113EB
	v_readlane_b32 s24, v235, 8                                // 00000000297C: D2890018 000111EB
	s_and_b32 s25, s25, 0xffff                                 // 000000002984: 8619FF19 0000FFFF
	s_or_b32 s25, s25, 0x40000                                 // 00000000298C: 8719FF19 00040000
	v_readlane_b32 s29, v235, 11                               // 000000002994: D289001D 000117EB
	v_readlane_b32 s28, v235, 10                               // 00000000299C: D289001C 000115EB
	s_and_b32 s29, s29, 0xffff                                 // 0000000029A4: 861DFF1D 0000FFFF
	s_or_b32 s29, s29, 0x40000                                 // 0000000029AC: 871DFF1D 00040000
	v_readlane_b32 s33, v235, 13                               // 0000000029B4: D2890021 00011BEB
	v_readlane_b32 s32, v235, 12                               // 0000000029BC: D2890020 000119EB
	s_and_b32 s33, s33, 0xffff                                 // 0000000029C4: 8621FF21 0000FFFF
	s_or_b32 s33, s33, 0x40000                                 // 0000000029CC: 8721FF21 00040000
	v_readlane_b32 s37, v235, 15                               // 0000000029D4: D2890025 00011FEB
	v_readlane_b32 s36, v235, 14                               // 0000000029DC: D2890024 00011DEB
	s_and_b32 s37, s37, 0xffff                                 // 0000000029E4: 8625FF25 0000FFFF
	s_or_b32 s37, s37, 0x40000                                 // 0000000029EC: 8725FF25 00040000

00000000000029f4 <label_017D>:
	s_cmp_eq_u32 s81, 0                                        // 0000000029F4: BF068051
	s_cbranch_scc1 label_022F                                  // 0000000029F8: BF8500B0
	s_mov_b32 s7, 0                                            // 0000000029FC: BE870080

0000000000002a00 <label_0180>:
	s_nop 15                                                   // 000000002A00: BF80000F
	s_addk_i32 s7, 0x1                                         // 000000002A04: B7070001
	s_cmp_lt_i32 s7, s6                                        // 000000002A08: BF040607
	s_cbranch_scc0 label_0185                                  // 000000002A0C: BF840001
	s_branch label_0180                                        // 000000002A10: BF82FFFB

0000000000002a14 <label_0185>:
	s_cmp_gt_u32 s64, 0                                        // 000000002A14: BF088040
	s_cbranch_scc1 label_018A                                  // 000000002A18: BF850003
	s_mul_i32 s84, s92, 0                                      // 000000002A1C: 9254805C
	s_load_dword s64, s[56:57], s84 glc                        // 000000002A20: C001101C 00000054

0000000000002a28 <label_018A>:
	s_cmp_gt_u32 s65, 0                                        // 000000002A28: BF088041
	s_cbranch_scc1 label_018F                                  // 000000002A2C: BF850003
	s_mul_i32 s84, s92, 1                                      // 000000002A30: 9254815C
	s_load_dword s65, s[56:57], s84 glc                        // 000000002A34: C001105C 00000054

0000000000002a3c <label_018F>:
	s_cmp_gt_u32 s66, 0                                        // 000000002A3C: BF088042
	s_cbranch_scc1 label_0194                                  // 000000002A40: BF850003
	s_mul_i32 s84, s92, 2                                      // 000000002A44: 9254825C
	s_load_dword s66, s[56:57], s84 glc                        // 000000002A48: C001109C 00000054

0000000000002a50 <label_0194>:
	s_cmp_gt_u32 s67, 0                                        // 000000002A50: BF088043
	s_cbranch_scc1 label_0199                                  // 000000002A54: BF850003
	s_mul_i32 s84, s92, 3                                      // 000000002A58: 9254835C
	s_load_dword s67, s[56:57], s84 glc                        // 000000002A5C: C00110DC 00000054

0000000000002a64 <label_0199>:
	s_cmp_gt_u32 s68, 0                                        // 000000002A64: BF088044
	s_cbranch_scc1 label_019E                                  // 000000002A68: BF850003
	s_mul_i32 s84, s92, 4                                      // 000000002A6C: 9254845C
	s_load_dword s68, s[56:57], s84 glc                        // 000000002A70: C001111C 00000054

0000000000002a78 <label_019E>:
	s_cmp_gt_u32 s69, 0                                        // 000000002A78: BF088045
	s_cbranch_scc1 label_01A3                                  // 000000002A7C: BF850003
	s_mul_i32 s84, s92, 5                                      // 000000002A80: 9254855C
	s_load_dword s69, s[56:57], s84 glc                        // 000000002A84: C001115C 00000054

0000000000002a8c <label_01A3>:
	s_cmp_gt_u32 s70, 0                                        // 000000002A8C: BF088046
	s_cbranch_scc1 label_01A8                                  // 000000002A90: BF850003
	s_mul_i32 s84, s92, 6                                      // 000000002A94: 9254865C
	s_load_dword s70, s[56:57], s84 glc                        // 000000002A98: C001119C 00000054

0000000000002aa0 <label_01A8>:
	s_cmp_gt_u32 s71, 0                                        // 000000002AA0: BF088047
	s_cbranch_scc1 label_01AD                                  // 000000002AA4: BF850003
	s_mul_i32 s84, s92, 7                                      // 000000002AA8: 9254875C
	s_load_dword s71, s[56:57], s84 glc                        // 000000002AAC: C00111DC 00000054

0000000000002ab4 <label_01AD>:
	s_waitcnt lgkmcnt(0)                                       // 000000002AB4: BF8CC07F
	s_lshl_b32 s84, s82, 0                                     // 000000002AB8: 8E548052
	s_nor_b32 s85, s84, 0                                      // 000000002ABC: 8C558054
	s_and_b32 s86, s84, s81                                    // 000000002AC0: 86565154
	s_cmp_eq_u32 s86, 0                                        // 000000002AC4: BF068056
	s_cbranch_scc1 label_01BE                                  // 000000002AC8: BF85000B
	s_cmp_gt_u32 s64, 0                                        // 000000002ACC: BF088040
	s_cbranch_scc0 label_01BE                                  // 000000002AD0: BF840009
	s_and_b32 s81, s85, s81                                    // 000000002AD4: 86515155
	buffer_load_dwordx4 v[36:39], v220, s[8:11], 0 offen       // 000000002AD8: E05C1000 800224DC
	buffer_load_dwordx4 v[40:43], v221, s[8:11], 0 offen       // 000000002AE0: E05C1000 800228DD
	buffer_load_dwordx4 v[44:47], v222, s[8:11], 0 offen       // 000000002AE8: E05C1000 80022CDE
	buffer_load_dwordx4 v[48:51], v223, s[8:11], 0 offen       // 000000002AF0: E05C1000 800230DF

0000000000002af8 <label_01BE>:
	s_lshl_b32 s84, s82, 1                                     // 000000002AF8: 8E548152
	s_nor_b32 s85, s84, 0                                      // 000000002AFC: 8C558054
	s_and_b32 s86, s84, s81                                    // 000000002B00: 86565154
	s_cmp_eq_u32 s86, 0                                        // 000000002B04: BF068056
	s_cbranch_scc1 label_01CE                                  // 000000002B08: BF85000B
	s_cmp_gt_u32 s65, 0                                        // 000000002B0C: BF088041
	s_cbranch_scc0 label_01CE                                  // 000000002B10: BF840009
	s_and_b32 s81, s85, s81                                    // 000000002B14: 86515155
	buffer_load_dwordx4 v[52:55], v220, s[12:15], 0 offen      // 000000002B18: E05C1000 800334DC
	buffer_load_dwordx4 v[56:59], v221, s[12:15], 0 offen      // 000000002B20: E05C1000 800338DD
	buffer_load_dwordx4 v[60:63], v222, s[12:15], 0 offen      // 000000002B28: E05C1000 80033CDE
	buffer_load_dwordx4 v[64:67], v223, s[12:15], 0 offen      // 000000002B30: E05C1000 800340DF

0000000000002b38 <label_01CE>:
	s_lshl_b32 s84, s82, 2                                     // 000000002B38: 8E548252
	s_nor_b32 s85, s84, 0                                      // 000000002B3C: 8C558054
	s_and_b32 s86, s84, s81                                    // 000000002B40: 86565154
	s_cmp_eq_u32 s86, 0                                        // 000000002B44: BF068056
	s_cbranch_scc1 label_01DE                                  // 000000002B48: BF85000B
	s_cmp_gt_u32 s66, 0                                        // 000000002B4C: BF088042
	s_cbranch_scc0 label_01DE                                  // 000000002B50: BF840009
	s_and_b32 s81, s85, s81                                    // 000000002B54: 86515155
	buffer_load_dwordx4 v[68:71], v220, s[16:19], 0 offen      // 000000002B58: E05C1000 800444DC
	buffer_load_dwordx4 v[72:75], v221, s[16:19], 0 offen      // 000000002B60: E05C1000 800448DD
	buffer_load_dwordx4 v[76:79], v222, s[16:19], 0 offen      // 000000002B68: E05C1000 80044CDE
	buffer_load_dwordx4 v[80:83], v223, s[16:19], 0 offen      // 000000002B70: E05C1000 800450DF

0000000000002b78 <label_01DE>:
	s_lshl_b32 s84, s82, 3                                     // 000000002B78: 8E548352
	s_nor_b32 s85, s84, 0                                      // 000000002B7C: 8C558054
	s_and_b32 s86, s84, s81                                    // 000000002B80: 86565154
	s_cmp_eq_u32 s86, 0                                        // 000000002B84: BF068056
	s_cbranch_scc1 label_01EE                                  // 000000002B88: BF85000B
	s_cmp_gt_u32 s67, 0                                        // 000000002B8C: BF088043
	s_cbranch_scc0 label_01EE                                  // 000000002B90: BF840009
	s_and_b32 s81, s85, s81                                    // 000000002B94: 86515155
	buffer_load_dwordx4 v[84:87], v220, s[20:23], 0 offen      // 000000002B98: E05C1000 800554DC
	buffer_load_dwordx4 v[88:91], v221, s[20:23], 0 offen      // 000000002BA0: E05C1000 800558DD
	buffer_load_dwordx4 v[92:95], v222, s[20:23], 0 offen      // 000000002BA8: E05C1000 80055CDE
	buffer_load_dwordx4 v[96:99], v223, s[20:23], 0 offen      // 000000002BB0: E05C1000 800560DF

0000000000002bb8 <label_01EE>:
	s_lshl_b32 s84, s82, 4                                     // 000000002BB8: 8E548452
	s_nor_b32 s85, s84, 0                                      // 000000002BBC: 8C558054
	s_and_b32 s86, s84, s81                                    // 000000002BC0: 86565154
	s_cmp_eq_u32 s86, 0                                        // 000000002BC4: BF068056
	s_cbranch_scc1 label_01FE                                  // 000000002BC8: BF85000B
	s_cmp_gt_u32 s68, 0                                        // 000000002BCC: BF088044
	s_cbranch_scc0 label_01FE                                  // 000000002BD0: BF840009
	s_and_b32 s81, s85, s81                                    // 000000002BD4: 86515155
	buffer_load_dwordx4 v[100:103], v220, s[24:27], 0 offen    // 000000002BD8: E05C1000 800664DC
	buffer_load_dwordx4 v[104:107], v221, s[24:27], 0 offen    // 000000002BE0: E05C1000 800668DD
	buffer_load_dwordx4 v[108:111], v222, s[24:27], 0 offen    // 000000002BE8: E05C1000 80066CDE
	buffer_load_dwordx4 v[112:115], v223, s[24:27], 0 offen    // 000000002BF0: E05C1000 800670DF

0000000000002bf8 <label_01FE>:
	s_lshl_b32 s84, s82, 5                                     // 000000002BF8: 8E548552
	s_nor_b32 s85, s84, 0                                      // 000000002BFC: 8C558054
	s_and_b32 s86, s84, s81                                    // 000000002C00: 86565154
	s_cmp_eq_u32 s86, 0                                        // 000000002C04: BF068056
	s_cbranch_scc1 label_020E                                  // 000000002C08: BF85000B
	s_cmp_gt_u32 s69, 0                                        // 000000002C0C: BF088045
	s_cbranch_scc0 label_020E                                  // 000000002C10: BF840009
	s_and_b32 s81, s85, s81                                    // 000000002C14: 86515155
	buffer_load_dwordx4 v[116:119], v220, s[28:31], 0 offen    // 000000002C18: E05C1000 800774DC
	buffer_load_dwordx4 v[120:123], v221, s[28:31], 0 offen    // 000000002C20: E05C1000 800778DD
	buffer_load_dwordx4 v[124:127], v222, s[28:31], 0 offen    // 000000002C28: E05C1000 80077CDE
	buffer_load_dwordx4 v[128:131], v223, s[28:31], 0 offen    // 000000002C30: E05C1000 800780DF

0000000000002c38 <label_020E>:
	s_lshl_b32 s84, s82, 6                                     // 000000002C38: 8E548652
	s_nor_b32 s85, s84, 0                                      // 000000002C3C: 8C558054
	s_and_b32 s86, s84, s81                                    // 000000002C40: 86565154
	s_cmp_eq_u32 s86, 0                                        // 000000002C44: BF068056
	s_cbranch_scc1 label_021E                                  // 000000002C48: BF85000B
	s_cmp_gt_u32 s70, 0                                        // 000000002C4C: BF088046
	s_cbranch_scc0 label_021E                                  // 000000002C50: BF840009
	s_and_b32 s81, s85, s81                                    // 000000002C54: 86515155
	buffer_load_dwordx4 v[132:135], v220, s[32:35], 0 offen    // 000000002C58: E05C1000 800884DC
	buffer_load_dwordx4 v[136:139], v221, s[32:35], 0 offen    // 000000002C60: E05C1000 800888DD
	buffer_load_dwordx4 v[140:143], v222, s[32:35], 0 offen    // 000000002C68: E05C1000 80088CDE
	buffer_load_dwordx4 v[144:147], v223, s[32:35], 0 offen    // 000000002C70: E05C1000 800890DF

0000000000002c78 <label_021E>:
	s_lshl_b32 s84, s82, 7                                     // 000000002C78: 8E548752
	s_nor_b32 s85, s84, 0                                      // 000000002C7C: 8C558054
	s_and_b32 s86, s84, s81                                    // 000000002C80: 86565154
	s_cmp_eq_u32 s86, 0                                        // 000000002C84: BF068056
	s_cbranch_scc1 label_022E                                  // 000000002C88: BF85000B
	s_cmp_gt_u32 s71, 0                                        // 000000002C8C: BF088047
	s_cbranch_scc0 label_022E                                  // 000000002C90: BF840009
	s_and_b32 s81, s85, s81                                    // 000000002C94: 86515155
	buffer_load_dwordx4 v[148:151], v220, s[36:39], 0 offen    // 000000002C98: E05C1000 800994DC
	buffer_load_dwordx4 v[152:155], v221, s[36:39], 0 offen    // 000000002CA0: E05C1000 800998DD
	buffer_load_dwordx4 v[156:159], v222, s[36:39], 0 offen    // 000000002CA8: E05C1000 80099CDE
	buffer_load_dwordx4 v[160:163], v223, s[36:39], 0 offen    // 000000002CB0: E05C1000 8009A0DF

0000000000002cb8 <label_022E>:
	s_branch label_017D                                        // 000000002CB8: BF82FF4E

0000000000002cbc <label_022F>:
	s_waitcnt vmcnt(0) expcnt(0) lgkmcnt(0)                    // 000000002CBC: BF8C0000
	v_and_b32_e32 v216, 0xffff0000, v36                        // 000000002CC0: 27B048FF FFFF0000
	v_lshlrev_b32_e32 v36, 16, v36                             // 000000002CC8: 24484890
	v_and_b32_e32 v217, 0xffff0000, v37                        // 000000002CCC: 27B24AFF FFFF0000
	v_lshlrev_b32_e32 v37, 16, v37                             // 000000002CD4: 244A4A90
	v_and_b32_e32 v218, 0xffff0000, v38                        // 000000002CD8: 27B44CFF FFFF0000
	v_lshlrev_b32_e32 v38, 16, v38                             // 000000002CE0: 244C4C90
	v_and_b32_e32 v219, 0xffff0000, v39                        // 000000002CE4: 27B64EFF FFFF0000
	v_lshlrev_b32_e32 v39, 16, v39                             // 000000002CEC: 244E4E90
	v_pk_add_f32 v[4:5], v[4:5], v[36:37]                      // 000000002CF0: D3B24004 18024904
	v_pk_add_f32 v[6:7], v[6:7], v[38:39]                      // 000000002CF8: D3B24006 18024D06
	v_pk_add_f32 v[20:21], v[20:21], v[216:217]                // 000000002D00: D3B24014 1803B114
	v_pk_add_f32 v[22:23], v[22:23], v[218:219]                // 000000002D08: D3B24016 1803B516
	v_and_b32_e32 v216, 0xffff0000, v40                        // 000000002D10: 27B050FF FFFF0000
	v_lshlrev_b32_e32 v40, 16, v40                             // 000000002D18: 24505090
	v_and_b32_e32 v217, 0xffff0000, v41                        // 000000002D1C: 27B252FF FFFF0000
	v_lshlrev_b32_e32 v41, 16, v41                             // 000000002D24: 24525290
	v_and_b32_e32 v218, 0xffff0000, v42                        // 000000002D28: 27B454FF FFFF0000
	v_lshlrev_b32_e32 v42, 16, v42                             // 000000002D30: 24545490
	v_and_b32_e32 v219, 0xffff0000, v43                        // 000000002D34: 27B656FF FFFF0000
	v_lshlrev_b32_e32 v43, 16, v43                             // 000000002D3C: 24565690
	v_pk_add_f32 v[8:9], v[8:9], v[40:41]                      // 000000002D40: D3B24008 18025108
	v_pk_add_f32 v[10:11], v[10:11], v[42:43]                  // 000000002D48: D3B2400A 1802550A
	v_pk_add_f32 v[24:25], v[24:25], v[216:217]                // 000000002D50: D3B24018 1803B118
	v_pk_add_f32 v[26:27], v[26:27], v[218:219]                // 000000002D58: D3B2401A 1803B51A
	v_and_b32_e32 v216, 0xffff0000, v44                        // 000000002D60: 27B058FF FFFF0000
	v_lshlrev_b32_e32 v44, 16, v44                             // 000000002D68: 24585890
	v_and_b32_e32 v217, 0xffff0000, v45                        // 000000002D6C: 27B25AFF FFFF0000
	v_lshlrev_b32_e32 v45, 16, v45                             // 000000002D74: 245A5A90
	v_and_b32_e32 v218, 0xffff0000, v46                        // 000000002D78: 27B45CFF FFFF0000
	v_lshlrev_b32_e32 v46, 16, v46                             // 000000002D80: 245C5C90
	v_and_b32_e32 v219, 0xffff0000, v47                        // 000000002D84: 27B65EFF FFFF0000
	v_lshlrev_b32_e32 v47, 16, v47                             // 000000002D8C: 245E5E90
	v_pk_add_f32 v[12:13], v[12:13], v[44:45]                  // 000000002D90: D3B2400C 1802590C
	v_pk_add_f32 v[14:15], v[14:15], v[46:47]                  // 000000002D98: D3B2400E 18025D0E
	v_pk_add_f32 v[28:29], v[28:29], v[216:217]                // 000000002DA0: D3B2401C 1803B11C
	v_pk_add_f32 v[30:31], v[30:31], v[218:219]                // 000000002DA8: D3B2401E 1803B51E
	v_and_b32_e32 v216, 0xffff0000, v48                        // 000000002DB0: 27B060FF FFFF0000
	v_lshlrev_b32_e32 v48, 16, v48                             // 000000002DB8: 24606090
	v_and_b32_e32 v217, 0xffff0000, v49                        // 000000002DBC: 27B262FF FFFF0000
	v_lshlrev_b32_e32 v49, 16, v49                             // 000000002DC4: 24626290
	v_and_b32_e32 v218, 0xffff0000, v50                        // 000000002DC8: 27B464FF FFFF0000
	v_lshlrev_b32_e32 v50, 16, v50                             // 000000002DD0: 24646490
	v_and_b32_e32 v219, 0xffff0000, v51                        // 000000002DD4: 27B666FF FFFF0000
	v_lshlrev_b32_e32 v51, 16, v51                             // 000000002DDC: 24666690
	v_pk_add_f32 v[16:17], v[16:17], v[48:49]                  // 000000002DE0: D3B24010 18026110
	v_pk_add_f32 v[18:19], v[18:19], v[50:51]                  // 000000002DE8: D3B24012 18026512
	v_pk_add_f32 v[32:33], v[32:33], v[216:217]                // 000000002DF0: D3B24020 1803B120
	v_pk_add_f32 v[34:35], v[34:35], v[218:219]                // 000000002DF8: D3B24022 1803B522
	s_mov_b32 s8, s58                                          // 000000002E00: BE88003A
	s_mov_b32 s9, s59                                          // 000000002E04: BE89003B
	buffer_load_dwordx4 v[164:167], v224, s[8:11], 0 offen     // 000000002E08: E05C1000 8002A4E0
	s_mov_b32 s12, s61                                         // 000000002E10: BE8C003D
	s_mov_b32 s13, s62                                         // 000000002E14: BE8D003E
	buffer_load_dwordx4 v[180:183], v224, s[12:15], 0 offen    // 000000002E18: E05C1000 8003B4E0
	v_and_b32_e32 v216, 0xffff0000, v52                        // 000000002E20: 27B068FF FFFF0000
	v_lshlrev_b32_e32 v52, 16, v52                             // 000000002E28: 24686890
	v_and_b32_e32 v217, 0xffff0000, v53                        // 000000002E2C: 27B26AFF FFFF0000
	v_lshlrev_b32_e32 v53, 16, v53                             // 000000002E34: 246A6A90
	v_and_b32_e32 v218, 0xffff0000, v54                        // 000000002E38: 27B46CFF FFFF0000
	v_lshlrev_b32_e32 v54, 16, v54                             // 000000002E40: 246C6C90
	v_and_b32_e32 v219, 0xffff0000, v55                        // 000000002E44: 27B66EFF FFFF0000
	v_lshlrev_b32_e32 v55, 16, v55                             // 000000002E4C: 246E6E90
	v_pk_add_f32 v[4:5], v[4:5], v[52:53]                      // 000000002E50: D3B24004 18026904
	v_pk_add_f32 v[6:7], v[6:7], v[54:55]                      // 000000002E58: D3B24006 18026D06
	v_pk_add_f32 v[20:21], v[20:21], v[216:217]                // 000000002E60: D3B24014 1803B114
	v_pk_add_f32 v[22:23], v[22:23], v[218:219]                // 000000002E68: D3B24016 1803B516
	v_and_b32_e32 v216, 0xffff0000, v56                        // 000000002E70: 27B070FF FFFF0000
	v_lshlrev_b32_e32 v56, 16, v56                             // 000000002E78: 24707090
	v_and_b32_e32 v217, 0xffff0000, v57                        // 000000002E7C: 27B272FF FFFF0000
	v_lshlrev_b32_e32 v57, 16, v57                             // 000000002E84: 24727290
	v_and_b32_e32 v218, 0xffff0000, v58                        // 000000002E88: 27B474FF FFFF0000
	v_lshlrev_b32_e32 v58, 16, v58                             // 000000002E90: 24747490
	v_and_b32_e32 v219, 0xffff0000, v59                        // 000000002E94: 27B676FF FFFF0000
	v_lshlrev_b32_e32 v59, 16, v59                             // 000000002E9C: 24767690
	v_pk_add_f32 v[8:9], v[8:9], v[56:57]                      // 000000002EA0: D3B24008 18027108
	v_pk_add_f32 v[10:11], v[10:11], v[58:59]                  // 000000002EA8: D3B2400A 1802750A
	v_pk_add_f32 v[24:25], v[24:25], v[216:217]                // 000000002EB0: D3B24018 1803B118
	v_pk_add_f32 v[26:27], v[26:27], v[218:219]                // 000000002EB8: D3B2401A 1803B51A
	v_and_b32_e32 v216, 0xffff0000, v60                        // 000000002EC0: 27B078FF FFFF0000
	v_lshlrev_b32_e32 v60, 16, v60                             // 000000002EC8: 24787890
	v_and_b32_e32 v217, 0xffff0000, v61                        // 000000002ECC: 27B27AFF FFFF0000
	v_lshlrev_b32_e32 v61, 16, v61                             // 000000002ED4: 247A7A90
	v_and_b32_e32 v218, 0xffff0000, v62                        // 000000002ED8: 27B47CFF FFFF0000
	v_lshlrev_b32_e32 v62, 16, v62                             // 000000002EE0: 247C7C90
	v_and_b32_e32 v219, 0xffff0000, v63                        // 000000002EE4: 27B67EFF FFFF0000
	v_lshlrev_b32_e32 v63, 16, v63                             // 000000002EEC: 247E7E90
	v_pk_add_f32 v[12:13], v[12:13], v[60:61]                  // 000000002EF0: D3B2400C 1802790C
	v_pk_add_f32 v[14:15], v[14:15], v[62:63]                  // 000000002EF8: D3B2400E 18027D0E
	v_pk_add_f32 v[28:29], v[28:29], v[216:217]                // 000000002F00: D3B2401C 1803B11C
	v_pk_add_f32 v[30:31], v[30:31], v[218:219]                // 000000002F08: D3B2401E 1803B51E
	v_and_b32_e32 v216, 0xffff0000, v64                        // 000000002F10: 27B080FF FFFF0000
	v_lshlrev_b32_e32 v64, 16, v64                             // 000000002F18: 24808090
	v_and_b32_e32 v217, 0xffff0000, v65                        // 000000002F1C: 27B282FF FFFF0000
	v_lshlrev_b32_e32 v65, 16, v65                             // 000000002F24: 24828290
	v_and_b32_e32 v218, 0xffff0000, v66                        // 000000002F28: 27B484FF FFFF0000
	v_lshlrev_b32_e32 v66, 16, v66                             // 000000002F30: 24848490
	v_and_b32_e32 v219, 0xffff0000, v67                        // 000000002F34: 27B686FF FFFF0000
	v_lshlrev_b32_e32 v67, 16, v67                             // 000000002F3C: 24868690
	v_pk_add_f32 v[16:17], v[16:17], v[64:65]                  // 000000002F40: D3B24010 18028110
	v_pk_add_f32 v[18:19], v[18:19], v[66:67]                  // 000000002F48: D3B24012 18028512
	v_pk_add_f32 v[32:33], v[32:33], v[216:217]                // 000000002F50: D3B24020 1803B120
	v_pk_add_f32 v[34:35], v[34:35], v[218:219]                // 000000002F58: D3B24022 1803B522
	buffer_load_dwordx4 v[168:171], v225, s[8:11], 0 offen     // 000000002F60: E05C1000 8002A8E1
	buffer_load_dwordx4 v[184:187], v225, s[12:15], 0 offen    // 000000002F68: E05C1000 8003B8E1
	v_and_b32_e32 v216, 0xffff0000, v68                        // 000000002F70: 27B088FF FFFF0000
	v_lshlrev_b32_e32 v68, 16, v68                             // 000000002F78: 24888890
	v_and_b32_e32 v217, 0xffff0000, v69                        // 000000002F7C: 27B28AFF FFFF0000
	v_lshlrev_b32_e32 v69, 16, v69                             // 000000002F84: 248A8A90
	v_and_b32_e32 v218, 0xffff0000, v70                        // 000000002F88: 27B48CFF FFFF0000
	v_lshlrev_b32_e32 v70, 16, v70                             // 000000002F90: 248C8C90
	v_and_b32_e32 v219, 0xffff0000, v71                        // 000000002F94: 27B68EFF FFFF0000
	v_lshlrev_b32_e32 v71, 16, v71                             // 000000002F9C: 248E8E90
	v_pk_add_f32 v[4:5], v[4:5], v[68:69]                      // 000000002FA0: D3B24004 18028904
	v_pk_add_f32 v[6:7], v[6:7], v[70:71]                      // 000000002FA8: D3B24006 18028D06
	v_pk_add_f32 v[20:21], v[20:21], v[216:217]                // 000000002FB0: D3B24014 1803B114
	v_pk_add_f32 v[22:23], v[22:23], v[218:219]                // 000000002FB8: D3B24016 1803B516
	v_and_b32_e32 v216, 0xffff0000, v72                        // 000000002FC0: 27B090FF FFFF0000
	v_lshlrev_b32_e32 v72, 16, v72                             // 000000002FC8: 24909090
	v_and_b32_e32 v217, 0xffff0000, v73                        // 000000002FCC: 27B292FF FFFF0000
	v_lshlrev_b32_e32 v73, 16, v73                             // 000000002FD4: 24929290
	v_and_b32_e32 v218, 0xffff0000, v74                        // 000000002FD8: 27B494FF FFFF0000
	v_lshlrev_b32_e32 v74, 16, v74                             // 000000002FE0: 24949490
	v_and_b32_e32 v219, 0xffff0000, v75                        // 000000002FE4: 27B696FF FFFF0000
	v_lshlrev_b32_e32 v75, 16, v75                             // 000000002FEC: 24969690
	v_pk_add_f32 v[8:9], v[8:9], v[72:73]                      // 000000002FF0: D3B24008 18029108
	v_pk_add_f32 v[10:11], v[10:11], v[74:75]                  // 000000002FF8: D3B2400A 1802950A
	v_pk_add_f32 v[24:25], v[24:25], v[216:217]                // 000000003000: D3B24018 1803B118
	v_pk_add_f32 v[26:27], v[26:27], v[218:219]                // 000000003008: D3B2401A 1803B51A
	v_and_b32_e32 v216, 0xffff0000, v76                        // 000000003010: 27B098FF FFFF0000
	v_lshlrev_b32_e32 v76, 16, v76                             // 000000003018: 24989890
	v_and_b32_e32 v217, 0xffff0000, v77                        // 00000000301C: 27B29AFF FFFF0000
	v_lshlrev_b32_e32 v77, 16, v77                             // 000000003024: 249A9A90
	v_and_b32_e32 v218, 0xffff0000, v78                        // 000000003028: 27B49CFF FFFF0000
	v_lshlrev_b32_e32 v78, 16, v78                             // 000000003030: 249C9C90
	v_and_b32_e32 v219, 0xffff0000, v79                        // 000000003034: 27B69EFF FFFF0000
	v_lshlrev_b32_e32 v79, 16, v79                             // 00000000303C: 249E9E90
	v_pk_add_f32 v[12:13], v[12:13], v[76:77]                  // 000000003040: D3B2400C 1802990C
	v_pk_add_f32 v[14:15], v[14:15], v[78:79]                  // 000000003048: D3B2400E 18029D0E
	v_pk_add_f32 v[28:29], v[28:29], v[216:217]                // 000000003050: D3B2401C 1803B11C
	v_pk_add_f32 v[30:31], v[30:31], v[218:219]                // 000000003058: D3B2401E 1803B51E
	v_and_b32_e32 v216, 0xffff0000, v80                        // 000000003060: 27B0A0FF FFFF0000
	v_lshlrev_b32_e32 v80, 16, v80                             // 000000003068: 24A0A090
	v_and_b32_e32 v217, 0xffff0000, v81                        // 00000000306C: 27B2A2FF FFFF0000
	v_lshlrev_b32_e32 v81, 16, v81                             // 000000003074: 24A2A290
	v_and_b32_e32 v218, 0xffff0000, v82                        // 000000003078: 27B4A4FF FFFF0000
	v_lshlrev_b32_e32 v82, 16, v82                             // 000000003080: 24A4A490
	v_and_b32_e32 v219, 0xffff0000, v83                        // 000000003084: 27B6A6FF FFFF0000
	v_lshlrev_b32_e32 v83, 16, v83                             // 00000000308C: 24A6A690
	v_pk_add_f32 v[16:17], v[16:17], v[80:81]                  // 000000003090: D3B24010 1802A110
	v_pk_add_f32 v[18:19], v[18:19], v[82:83]                  // 000000003098: D3B24012 1802A512
	v_pk_add_f32 v[32:33], v[32:33], v[216:217]                // 0000000030A0: D3B24020 1803B120
	v_pk_add_f32 v[34:35], v[34:35], v[218:219]                // 0000000030A8: D3B24022 1803B522
	buffer_load_dwordx4 v[172:175], v226, s[8:11], 0 offen     // 0000000030B0: E05C1000 8002ACE2
	buffer_load_dwordx4 v[188:191], v226, s[12:15], 0 offen    // 0000000030B8: E05C1000 8003BCE2
	v_and_b32_e32 v216, 0xffff0000, v84                        // 0000000030C0: 27B0A8FF FFFF0000
	v_lshlrev_b32_e32 v84, 16, v84                             // 0000000030C8: 24A8A890
	v_and_b32_e32 v217, 0xffff0000, v85                        // 0000000030CC: 27B2AAFF FFFF0000
	v_lshlrev_b32_e32 v85, 16, v85                             // 0000000030D4: 24AAAA90
	v_and_b32_e32 v218, 0xffff0000, v86                        // 0000000030D8: 27B4ACFF FFFF0000
	v_lshlrev_b32_e32 v86, 16, v86                             // 0000000030E0: 24ACAC90
	v_and_b32_e32 v219, 0xffff0000, v87                        // 0000000030E4: 27B6AEFF FFFF0000
	v_lshlrev_b32_e32 v87, 16, v87                             // 0000000030EC: 24AEAE90
	v_pk_add_f32 v[4:5], v[4:5], v[84:85]                      // 0000000030F0: D3B24004 1802A904
	v_pk_add_f32 v[6:7], v[6:7], v[86:87]                      // 0000000030F8: D3B24006 1802AD06
	v_pk_add_f32 v[20:21], v[20:21], v[216:217]                // 000000003100: D3B24014 1803B114
	v_pk_add_f32 v[22:23], v[22:23], v[218:219]                // 000000003108: D3B24016 1803B516
	v_and_b32_e32 v216, 0xffff0000, v88                        // 000000003110: 27B0B0FF FFFF0000
	v_lshlrev_b32_e32 v88, 16, v88                             // 000000003118: 24B0B090
	v_and_b32_e32 v217, 0xffff0000, v89                        // 00000000311C: 27B2B2FF FFFF0000
	v_lshlrev_b32_e32 v89, 16, v89                             // 000000003124: 24B2B290
	v_and_b32_e32 v218, 0xffff0000, v90                        // 000000003128: 27B4B4FF FFFF0000
	v_lshlrev_b32_e32 v90, 16, v90                             // 000000003130: 24B4B490
	v_and_b32_e32 v219, 0xffff0000, v91                        // 000000003134: 27B6B6FF FFFF0000
	v_lshlrev_b32_e32 v91, 16, v91                             // 00000000313C: 24B6B690
	v_pk_add_f32 v[8:9], v[8:9], v[88:89]                      // 000000003140: D3B24008 1802B108
	v_pk_add_f32 v[10:11], v[10:11], v[90:91]                  // 000000003148: D3B2400A 1802B50A
	v_pk_add_f32 v[24:25], v[24:25], v[216:217]                // 000000003150: D3B24018 1803B118
	v_pk_add_f32 v[26:27], v[26:27], v[218:219]                // 000000003158: D3B2401A 1803B51A
	v_and_b32_e32 v216, 0xffff0000, v92                        // 000000003160: 27B0B8FF FFFF0000
	v_lshlrev_b32_e32 v92, 16, v92                             // 000000003168: 24B8B890
	v_and_b32_e32 v217, 0xffff0000, v93                        // 00000000316C: 27B2BAFF FFFF0000
	v_lshlrev_b32_e32 v93, 16, v93                             // 000000003174: 24BABA90
	v_and_b32_e32 v218, 0xffff0000, v94                        // 000000003178: 27B4BCFF FFFF0000
	v_lshlrev_b32_e32 v94, 16, v94                             // 000000003180: 24BCBC90
	v_and_b32_e32 v219, 0xffff0000, v95                        // 000000003184: 27B6BEFF FFFF0000
	v_lshlrev_b32_e32 v95, 16, v95                             // 00000000318C: 24BEBE90
	v_pk_add_f32 v[12:13], v[12:13], v[92:93]                  // 000000003190: D3B2400C 1802B90C
	v_pk_add_f32 v[14:15], v[14:15], v[94:95]                  // 000000003198: D3B2400E 1802BD0E
	v_pk_add_f32 v[28:29], v[28:29], v[216:217]                // 0000000031A0: D3B2401C 1803B11C
	v_pk_add_f32 v[30:31], v[30:31], v[218:219]                // 0000000031A8: D3B2401E 1803B51E
	v_and_b32_e32 v216, 0xffff0000, v96                        // 0000000031B0: 27B0C0FF FFFF0000
	v_lshlrev_b32_e32 v96, 16, v96                             // 0000000031B8: 24C0C090
	v_and_b32_e32 v217, 0xffff0000, v97                        // 0000000031BC: 27B2C2FF FFFF0000
	v_lshlrev_b32_e32 v97, 16, v97                             // 0000000031C4: 24C2C290
	v_and_b32_e32 v218, 0xffff0000, v98                        // 0000000031C8: 27B4C4FF FFFF0000
	v_lshlrev_b32_e32 v98, 16, v98                             // 0000000031D0: 24C4C490
	v_and_b32_e32 v219, 0xffff0000, v99                        // 0000000031D4: 27B6C6FF FFFF0000
	v_lshlrev_b32_e32 v99, 16, v99                             // 0000000031DC: 24C6C690
	v_pk_add_f32 v[16:17], v[16:17], v[96:97]                  // 0000000031E0: D3B24010 1802C110
	v_pk_add_f32 v[18:19], v[18:19], v[98:99]                  // 0000000031E8: D3B24012 1802C512
	v_pk_add_f32 v[32:33], v[32:33], v[216:217]                // 0000000031F0: D3B24020 1803B120
	v_pk_add_f32 v[34:35], v[34:35], v[218:219]                // 0000000031F8: D3B24022 1803B522
	buffer_load_dwordx4 v[176:179], v227, s[8:11], 0 offen     // 000000003200: E05C1000 8002B0E3
	buffer_load_dwordx4 v[192:195], v227, s[12:15], 0 offen    // 000000003208: E05C1000 8003C0E3
	v_and_b32_e32 v216, 0xffff0000, v100                       // 000000003210: 27B0C8FF FFFF0000
	v_lshlrev_b32_e32 v100, 16, v100                           // 000000003218: 24C8C890
	v_and_b32_e32 v217, 0xffff0000, v101                       // 00000000321C: 27B2CAFF FFFF0000
	v_lshlrev_b32_e32 v101, 16, v101                           // 000000003224: 24CACA90
	v_and_b32_e32 v218, 0xffff0000, v102                       // 000000003228: 27B4CCFF FFFF0000
	v_lshlrev_b32_e32 v102, 16, v102                           // 000000003230: 24CCCC90
	v_and_b32_e32 v219, 0xffff0000, v103                       // 000000003234: 27B6CEFF FFFF0000
	v_lshlrev_b32_e32 v103, 16, v103                           // 00000000323C: 24CECE90
	v_pk_add_f32 v[4:5], v[4:5], v[100:101]                    // 000000003240: D3B24004 1802C904
	v_pk_add_f32 v[6:7], v[6:7], v[102:103]                    // 000000003248: D3B24006 1802CD06
	v_pk_add_f32 v[20:21], v[20:21], v[216:217]                // 000000003250: D3B24014 1803B114
	v_pk_add_f32 v[22:23], v[22:23], v[218:219]                // 000000003258: D3B24016 1803B516
	v_and_b32_e32 v216, 0xffff0000, v104                       // 000000003260: 27B0D0FF FFFF0000
	v_lshlrev_b32_e32 v104, 16, v104                           // 000000003268: 24D0D090
	v_and_b32_e32 v217, 0xffff0000, v105                       // 00000000326C: 27B2D2FF FFFF0000
	v_lshlrev_b32_e32 v105, 16, v105                           // 000000003274: 24D2D290
	v_and_b32_e32 v218, 0xffff0000, v106                       // 000000003278: 27B4D4FF FFFF0000
	v_lshlrev_b32_e32 v106, 16, v106                           // 000000003280: 24D4D490
	v_and_b32_e32 v219, 0xffff0000, v107                       // 000000003284: 27B6D6FF FFFF0000
	v_lshlrev_b32_e32 v107, 16, v107                           // 00000000328C: 24D6D690
	v_pk_add_f32 v[8:9], v[8:9], v[104:105]                    // 000000003290: D3B24008 1802D108
	v_pk_add_f32 v[10:11], v[10:11], v[106:107]                // 000000003298: D3B2400A 1802D50A
	v_pk_add_f32 v[24:25], v[24:25], v[216:217]                // 0000000032A0: D3B24018 1803B118
	v_pk_add_f32 v[26:27], v[26:27], v[218:219]                // 0000000032A8: D3B2401A 1803B51A
	v_and_b32_e32 v216, 0xffff0000, v108                       // 0000000032B0: 27B0D8FF FFFF0000
	v_lshlrev_b32_e32 v108, 16, v108                           // 0000000032B8: 24D8D890
	v_and_b32_e32 v217, 0xffff0000, v109                       // 0000000032BC: 27B2DAFF FFFF0000
	v_lshlrev_b32_e32 v109, 16, v109                           // 0000000032C4: 24DADA90
	v_and_b32_e32 v218, 0xffff0000, v110                       // 0000000032C8: 27B4DCFF FFFF0000
	v_lshlrev_b32_e32 v110, 16, v110                           // 0000000032D0: 24DCDC90
	v_and_b32_e32 v219, 0xffff0000, v111                       // 0000000032D4: 27B6DEFF FFFF0000
	v_lshlrev_b32_e32 v111, 16, v111                           // 0000000032DC: 24DEDE90
	v_pk_add_f32 v[12:13], v[12:13], v[108:109]                // 0000000032E0: D3B2400C 1802D90C
	v_pk_add_f32 v[14:15], v[14:15], v[110:111]                // 0000000032E8: D3B2400E 1802DD0E
	v_pk_add_f32 v[28:29], v[28:29], v[216:217]                // 0000000032F0: D3B2401C 1803B11C
	v_pk_add_f32 v[30:31], v[30:31], v[218:219]                // 0000000032F8: D3B2401E 1803B51E
	v_and_b32_e32 v216, 0xffff0000, v112                       // 000000003300: 27B0E0FF FFFF0000
	v_lshlrev_b32_e32 v112, 16, v112                           // 000000003308: 24E0E090
	v_and_b32_e32 v217, 0xffff0000, v113                       // 00000000330C: 27B2E2FF FFFF0000
	v_lshlrev_b32_e32 v113, 16, v113                           // 000000003314: 24E2E290
	v_and_b32_e32 v218, 0xffff0000, v114                       // 000000003318: 27B4E4FF FFFF0000
	v_lshlrev_b32_e32 v114, 16, v114                           // 000000003320: 24E4E490
	v_and_b32_e32 v219, 0xffff0000, v115                       // 000000003324: 27B6E6FF FFFF0000
	v_lshlrev_b32_e32 v115, 16, v115                           // 00000000332C: 24E6E690
	v_pk_add_f32 v[16:17], v[16:17], v[112:113]                // 000000003330: D3B24010 1802E110
	v_pk_add_f32 v[18:19], v[18:19], v[114:115]                // 000000003338: D3B24012 1802E512
	v_pk_add_f32 v[32:33], v[32:33], v[216:217]                // 000000003340: D3B24020 1803B120
	v_pk_add_f32 v[34:35], v[34:35], v[218:219]                // 000000003348: D3B24022 1803B522
	s_mov_b32 s16, 16                                          // 000000003350: BE900090
	s_mul_i32 s17, 0x400, 8                                    // 000000003354: 921188FF 00000400
	s_sub_u32 s17, s17, s16                                    // 00000000335C: 80911011
	s_mov_b32 s90, 0x80000000                                  // 000000003360: BEDA00FF 80000000
	s_mov_b32 s91, 0x20000                                     // 000000003368: BEDB00FF 00020000
	buffer_load_dwordx4 v[68:71], v231, s[88:91], 0 offen      // 000000003370: E05C1000 801644E7
	s_add_u32 s88, s16, s88                                    // 000000003378: 80585810
	s_addc_u32 s89, 0, s89                                     // 00000000337C: 82595980
	buffer_load_dwordx4 v[72:75], v231, s[88:91], 0 offen      // 000000003380: E05C1000 801648E7
	s_add_u32 s88, s17, s88                                    // 000000003388: 80585811
	s_addc_u32 s89, 0, s89                                     // 00000000338C: 82595980
	v_and_b32_e32 v216, 0xffff0000, v116                       // 000000003390: 27B0E8FF FFFF0000
	v_lshlrev_b32_e32 v116, 16, v116                           // 000000003398: 24E8E890
	v_and_b32_e32 v217, 0xffff0000, v117                       // 00000000339C: 27B2EAFF FFFF0000
	v_lshlrev_b32_e32 v117, 16, v117                           // 0000000033A4: 24EAEA90
	v_and_b32_e32 v218, 0xffff0000, v118                       // 0000000033A8: 27B4ECFF FFFF0000
	v_lshlrev_b32_e32 v118, 16, v118                           // 0000000033B0: 24ECEC90
	v_and_b32_e32 v219, 0xffff0000, v119                       // 0000000033B4: 27B6EEFF FFFF0000
	v_lshlrev_b32_e32 v119, 16, v119                           // 0000000033BC: 24EEEE90
	v_pk_add_f32 v[4:5], v[4:5], v[116:117]                    // 0000000033C0: D3B24004 1802E904
	v_pk_add_f32 v[6:7], v[6:7], v[118:119]                    // 0000000033C8: D3B24006 1802ED06
	v_pk_add_f32 v[20:21], v[20:21], v[216:217]                // 0000000033D0: D3B24014 1803B114
	v_pk_add_f32 v[22:23], v[22:23], v[218:219]                // 0000000033D8: D3B24016 1803B516
	v_and_b32_e32 v216, 0xffff0000, v120                       // 0000000033E0: 27B0F0FF FFFF0000
	v_lshlrev_b32_e32 v120, 16, v120                           // 0000000033E8: 24F0F090
	v_and_b32_e32 v217, 0xffff0000, v121                       // 0000000033EC: 27B2F2FF FFFF0000
	v_lshlrev_b32_e32 v121, 16, v121                           // 0000000033F4: 24F2F290
	v_and_b32_e32 v218, 0xffff0000, v122                       // 0000000033F8: 27B4F4FF FFFF0000
	v_lshlrev_b32_e32 v122, 16, v122                           // 000000003400: 24F4F490
	v_and_b32_e32 v219, 0xffff0000, v123                       // 000000003404: 27B6F6FF FFFF0000
	v_lshlrev_b32_e32 v123, 16, v123                           // 00000000340C: 24F6F690
	v_pk_add_f32 v[8:9], v[8:9], v[120:121]                    // 000000003410: D3B24008 1802F108
	v_pk_add_f32 v[10:11], v[10:11], v[122:123]                // 000000003418: D3B2400A 1802F50A
	v_pk_add_f32 v[24:25], v[24:25], v[216:217]                // 000000003420: D3B24018 1803B118
	v_pk_add_f32 v[26:27], v[26:27], v[218:219]                // 000000003428: D3B2401A 1803B51A
	v_and_b32_e32 v216, 0xffff0000, v124                       // 000000003430: 27B0F8FF FFFF0000
	v_lshlrev_b32_e32 v124, 16, v124                           // 000000003438: 24F8F890
	v_and_b32_e32 v217, 0xffff0000, v125                       // 00000000343C: 27B2FAFF FFFF0000
	v_lshlrev_b32_e32 v125, 16, v125                           // 000000003444: 24FAFA90
	v_and_b32_e32 v218, 0xffff0000, v126                       // 000000003448: 27B4FCFF FFFF0000
	v_lshlrev_b32_e32 v126, 16, v126                           // 000000003450: 24FCFC90
	v_and_b32_e32 v219, 0xffff0000, v127                       // 000000003454: 27B6FEFF FFFF0000
	v_lshlrev_b32_e32 v127, 16, v127                           // 00000000345C: 24FEFE90
	v_pk_add_f32 v[12:13], v[12:13], v[124:125]                // 000000003460: D3B2400C 1802F90C
	v_pk_add_f32 v[14:15], v[14:15], v[126:127]                // 000000003468: D3B2400E 1802FD0E
	v_pk_add_f32 v[28:29], v[28:29], v[216:217]                // 000000003470: D3B2401C 1803B11C
	v_pk_add_f32 v[30:31], v[30:31], v[218:219]                // 000000003478: D3B2401E 1803B51E
	v_and_b32_e32 v216, 0xffff0000, v128                       // 000000003480: 27B100FF FFFF0000
	v_lshlrev_b32_e32 v128, 16, v128                           // 000000003488: 25010090
	v_and_b32_e32 v217, 0xffff0000, v129                       // 00000000348C: 27B302FF FFFF0000
	v_lshlrev_b32_e32 v129, 16, v129                           // 000000003494: 25030290
	v_and_b32_e32 v218, 0xffff0000, v130                       // 000000003498: 27B504FF FFFF0000
	v_lshlrev_b32_e32 v130, 16, v130                           // 0000000034A0: 25050490
	v_and_b32_e32 v219, 0xffff0000, v131                       // 0000000034A4: 27B706FF FFFF0000
	v_lshlrev_b32_e32 v131, 16, v131                           // 0000000034AC: 25070690
	v_pk_add_f32 v[16:17], v[16:17], v[128:129]                // 0000000034B0: D3B24010 18030110
	v_pk_add_f32 v[18:19], v[18:19], v[130:131]                // 0000000034B8: D3B24012 18030512
	v_pk_add_f32 v[32:33], v[32:33], v[216:217]                // 0000000034C0: D3B24020 1803B120
	v_pk_add_f32 v[34:35], v[34:35], v[218:219]                // 0000000034C8: D3B24022 1803B522
	buffer_load_dwordx4 v[76:79], v231, s[88:91], 0 offen      // 0000000034D0: E05C1000 80164CE7
	s_add_u32 s88, s16, s88                                    // 0000000034D8: 80585810
	s_addc_u32 s89, 0, s89                                     // 0000000034DC: 82595980
	buffer_load_dwordx4 v[80:83], v231, s[88:91], 0 offen      // 0000000034E0: E05C1000 801650E7
	s_add_u32 s88, s17, s88                                    // 0000000034E8: 80585811
	s_addc_u32 s89, 0, s89                                     // 0000000034EC: 82595980
	v_and_b32_e32 v216, 0xffff0000, v132                       // 0000000034F0: 27B108FF FFFF0000
	v_lshlrev_b32_e32 v132, 16, v132                           // 0000000034F8: 25090890
	v_and_b32_e32 v217, 0xffff0000, v133                       // 0000000034FC: 27B30AFF FFFF0000
	v_lshlrev_b32_e32 v133, 16, v133                           // 000000003504: 250B0A90
	v_and_b32_e32 v218, 0xffff0000, v134                       // 000000003508: 27B50CFF FFFF0000
	v_lshlrev_b32_e32 v134, 16, v134                           // 000000003510: 250D0C90
	v_and_b32_e32 v219, 0xffff0000, v135                       // 000000003514: 27B70EFF FFFF0000
	v_lshlrev_b32_e32 v135, 16, v135                           // 00000000351C: 250F0E90
	v_pk_add_f32 v[4:5], v[4:5], v[132:133]                    // 000000003520: D3B24004 18030904
	v_pk_add_f32 v[6:7], v[6:7], v[134:135]                    // 000000003528: D3B24006 18030D06
	v_pk_add_f32 v[20:21], v[20:21], v[216:217]                // 000000003530: D3B24014 1803B114
	v_pk_add_f32 v[22:23], v[22:23], v[218:219]                // 000000003538: D3B24016 1803B516
	v_and_b32_e32 v216, 0xffff0000, v136                       // 000000003540: 27B110FF FFFF0000
	v_lshlrev_b32_e32 v136, 16, v136                           // 000000003548: 25111090
	v_and_b32_e32 v217, 0xffff0000, v137                       // 00000000354C: 27B312FF FFFF0000
	v_lshlrev_b32_e32 v137, 16, v137                           // 000000003554: 25131290
	v_and_b32_e32 v218, 0xffff0000, v138                       // 000000003558: 27B514FF FFFF0000
	v_lshlrev_b32_e32 v138, 16, v138                           // 000000003560: 25151490
	v_and_b32_e32 v219, 0xffff0000, v139                       // 000000003564: 27B716FF FFFF0000
	v_lshlrev_b32_e32 v139, 16, v139                           // 00000000356C: 25171690
	v_pk_add_f32 v[8:9], v[8:9], v[136:137]                    // 000000003570: D3B24008 18031108
	v_pk_add_f32 v[10:11], v[10:11], v[138:139]                // 000000003578: D3B2400A 1803150A
	v_pk_add_f32 v[24:25], v[24:25], v[216:217]                // 000000003580: D3B24018 1803B118
	v_pk_add_f32 v[26:27], v[26:27], v[218:219]                // 000000003588: D3B2401A 1803B51A
	v_and_b32_e32 v216, 0xffff0000, v140                       // 000000003590: 27B118FF FFFF0000
	v_lshlrev_b32_e32 v140, 16, v140                           // 000000003598: 25191890
	v_and_b32_e32 v217, 0xffff0000, v141                       // 00000000359C: 27B31AFF FFFF0000
	v_lshlrev_b32_e32 v141, 16, v141                           // 0000000035A4: 251B1A90
	v_and_b32_e32 v218, 0xffff0000, v142                       // 0000000035A8: 27B51CFF FFFF0000
	v_lshlrev_b32_e32 v142, 16, v142                           // 0000000035B0: 251D1C90
	v_and_b32_e32 v219, 0xffff0000, v143                       // 0000000035B4: 27B71EFF FFFF0000
	v_lshlrev_b32_e32 v143, 16, v143                           // 0000000035BC: 251F1E90
	v_pk_add_f32 v[12:13], v[12:13], v[140:141]                // 0000000035C0: D3B2400C 1803190C
	v_pk_add_f32 v[14:15], v[14:15], v[142:143]                // 0000000035C8: D3B2400E 18031D0E
	v_pk_add_f32 v[28:29], v[28:29], v[216:217]                // 0000000035D0: D3B2401C 1803B11C
	v_pk_add_f32 v[30:31], v[30:31], v[218:219]                // 0000000035D8: D3B2401E 1803B51E
	v_and_b32_e32 v216, 0xffff0000, v144                       // 0000000035E0: 27B120FF FFFF0000
	v_lshlrev_b32_e32 v144, 16, v144                           // 0000000035E8: 25212090
	v_and_b32_e32 v217, 0xffff0000, v145                       // 0000000035EC: 27B322FF FFFF0000
	v_lshlrev_b32_e32 v145, 16, v145                           // 0000000035F4: 25232290
	v_and_b32_e32 v218, 0xffff0000, v146                       // 0000000035F8: 27B524FF FFFF0000
	v_lshlrev_b32_e32 v146, 16, v146                           // 000000003600: 25252490
	v_and_b32_e32 v219, 0xffff0000, v147                       // 000000003604: 27B726FF FFFF0000
	v_lshlrev_b32_e32 v147, 16, v147                           // 00000000360C: 25272690
	v_pk_add_f32 v[16:17], v[16:17], v[144:145]                // 000000003610: D3B24010 18032110
	v_pk_add_f32 v[18:19], v[18:19], v[146:147]                // 000000003618: D3B24012 18032512
	v_pk_add_f32 v[32:33], v[32:33], v[216:217]                // 000000003620: D3B24020 1803B120
	v_pk_add_f32 v[34:35], v[34:35], v[218:219]                // 000000003628: D3B24022 1803B522
	buffer_load_dwordx4 v[84:87], v231, s[88:91], 0 offen      // 000000003630: E05C1000 801654E7
	s_add_u32 s88, s16, s88                                    // 000000003638: 80585810
	s_addc_u32 s89, 0, s89                                     // 00000000363C: 82595980
	buffer_load_dwordx4 v[88:91], v231, s[88:91], 0 offen      // 000000003640: E05C1000 801658E7
	s_add_u32 s88, s17, s88                                    // 000000003648: 80585811
	s_addc_u32 s89, 0, s89                                     // 00000000364C: 82595980
	v_and_b32_e32 v216, 0xffff0000, v148                       // 000000003650: 27B128FF FFFF0000
	v_lshlrev_b32_e32 v148, 16, v148                           // 000000003658: 25292890
	v_and_b32_e32 v217, 0xffff0000, v149                       // 00000000365C: 27B32AFF FFFF0000
	v_lshlrev_b32_e32 v149, 16, v149                           // 000000003664: 252B2A90
	v_and_b32_e32 v218, 0xffff0000, v150                       // 000000003668: 27B52CFF FFFF0000
	v_lshlrev_b32_e32 v150, 16, v150                           // 000000003670: 252D2C90
	v_and_b32_e32 v219, 0xffff0000, v151                       // 000000003674: 27B72EFF FFFF0000
	v_lshlrev_b32_e32 v151, 16, v151                           // 00000000367C: 252F2E90
	v_pk_add_f32 v[4:5], v[4:5], v[148:149]                    // 000000003680: D3B24004 18032904
	v_pk_add_f32 v[6:7], v[6:7], v[150:151]                    // 000000003688: D3B24006 18032D06
	v_pk_add_f32 v[20:21], v[20:21], v[216:217]                // 000000003690: D3B24014 1803B114
	v_pk_add_f32 v[22:23], v[22:23], v[218:219]                // 000000003698: D3B24016 1803B516
	v_and_b32_e32 v216, 0xffff0000, v152                       // 0000000036A0: 27B130FF FFFF0000
	v_lshlrev_b32_e32 v152, 16, v152                           // 0000000036A8: 25313090
	v_and_b32_e32 v217, 0xffff0000, v153                       // 0000000036AC: 27B332FF FFFF0000
	v_lshlrev_b32_e32 v153, 16, v153                           // 0000000036B4: 25333290
	v_and_b32_e32 v218, 0xffff0000, v154                       // 0000000036B8: 27B534FF FFFF0000
	v_lshlrev_b32_e32 v154, 16, v154                           // 0000000036C0: 25353490
	v_and_b32_e32 v219, 0xffff0000, v155                       // 0000000036C4: 27B736FF FFFF0000
	v_lshlrev_b32_e32 v155, 16, v155                           // 0000000036CC: 25373690
	v_pk_add_f32 v[8:9], v[8:9], v[152:153]                    // 0000000036D0: D3B24008 18033108
	v_pk_add_f32 v[10:11], v[10:11], v[154:155]                // 0000000036D8: D3B2400A 1803350A
	v_pk_add_f32 v[24:25], v[24:25], v[216:217]                // 0000000036E0: D3B24018 1803B118
	v_pk_add_f32 v[26:27], v[26:27], v[218:219]                // 0000000036E8: D3B2401A 1803B51A
	v_and_b32_e32 v216, 0xffff0000, v156                       // 0000000036F0: 27B138FF FFFF0000
	v_lshlrev_b32_e32 v156, 16, v156                           // 0000000036F8: 25393890
	v_and_b32_e32 v217, 0xffff0000, v157                       // 0000000036FC: 27B33AFF FFFF0000
	v_lshlrev_b32_e32 v157, 16, v157                           // 000000003704: 253B3A90
	v_and_b32_e32 v218, 0xffff0000, v158                       // 000000003708: 27B53CFF FFFF0000
	v_lshlrev_b32_e32 v158, 16, v158                           // 000000003710: 253D3C90
	v_and_b32_e32 v219, 0xffff0000, v159                       // 000000003714: 27B73EFF FFFF0000
	v_lshlrev_b32_e32 v159, 16, v159                           // 00000000371C: 253F3E90
	v_pk_add_f32 v[12:13], v[12:13], v[156:157]                // 000000003720: D3B2400C 1803390C
	v_pk_add_f32 v[14:15], v[14:15], v[158:159]                // 000000003728: D3B2400E 18033D0E
	v_pk_add_f32 v[28:29], v[28:29], v[216:217]                // 000000003730: D3B2401C 1803B11C
	v_pk_add_f32 v[30:31], v[30:31], v[218:219]                // 000000003738: D3B2401E 1803B51E
	v_and_b32_e32 v216, 0xffff0000, v160                       // 000000003740: 27B140FF FFFF0000
	v_lshlrev_b32_e32 v160, 16, v160                           // 000000003748: 25414090
	v_and_b32_e32 v217, 0xffff0000, v161                       // 00000000374C: 27B342FF FFFF0000
	v_lshlrev_b32_e32 v161, 16, v161                           // 000000003754: 25434290
	v_and_b32_e32 v218, 0xffff0000, v162                       // 000000003758: 27B544FF FFFF0000
	v_lshlrev_b32_e32 v162, 16, v162                           // 000000003760: 25454490
	v_and_b32_e32 v219, 0xffff0000, v163                       // 000000003764: 27B746FF FFFF0000
	v_lshlrev_b32_e32 v163, 16, v163                           // 00000000376C: 25474690
	v_pk_add_f32 v[16:17], v[16:17], v[160:161]                // 000000003770: D3B24010 18034110
	v_pk_add_f32 v[18:19], v[18:19], v[162:163]                // 000000003778: D3B24012 18034512
	v_pk_add_f32 v[32:33], v[32:33], v[216:217]                // 000000003780: D3B24020 1803B120
	v_pk_add_f32 v[34:35], v[34:35], v[218:219]                // 000000003788: D3B24022 1803B522
	buffer_load_dwordx4 v[92:95], v231, s[88:91], 0 offen      // 000000003790: E05C1000 80165CE7
	s_add_u32 s88, s16, s88                                    // 000000003798: 80585810
	s_addc_u32 s89, 0, s89                                     // 00000000379C: 82595980
	buffer_load_dwordx4 v[96:99], v231, s[88:91], 0 offen      // 0000000037A0: E05C1000 801660E7
	s_add_u32 s88, s17, s88                                    // 0000000037A8: 80585811
	s_addc_u32 s89, 0, s89                                     // 0000000037AC: 82595980
	v_and_b32_e32 v216, 0xffff0000, v196                       // 0000000037B0: 27B188FF FFFF0000
	v_lshlrev_b32_e32 v196, 16, v196                           // 0000000037B8: 25898890
	v_and_b32_e32 v217, 0xffff0000, v197                       // 0000000037BC: 27B38AFF FFFF0000
	v_lshlrev_b32_e32 v197, 16, v197                           // 0000000037C4: 258B8A90
	v_and_b32_e32 v218, 0xffff0000, v198                       // 0000000037C8: 27B58CFF FFFF0000
	v_lshlrev_b32_e32 v198, 16, v198                           // 0000000037D0: 258D8C90
	v_and_b32_e32 v219, 0xffff0000, v199                       // 0000000037D4: 27B78EFF FFFF0000
	v_lshlrev_b32_e32 v199, 16, v199                           // 0000000037DC: 258F8E90
	v_pk_add_f32 v[4:5], v[4:5], v[196:197]                    // 0000000037E0: D3B24004 18038904
	v_pk_add_f32 v[6:7], v[6:7], v[198:199]                    // 0000000037E8: D3B24006 18038D06
	v_pk_add_f32 v[20:21], v[20:21], v[216:217]                // 0000000037F0: D3B24014 1803B114
	v_pk_add_f32 v[22:23], v[22:23], v[218:219]                // 0000000037F8: D3B24016 1803B516
	v_perm_b32 v196, v20, v4, s83                              // 000000003800: D1ED00C4 014E0914
	v_perm_b32 v197, v21, v5, s83                              // 000000003808: D1ED00C5 014E0B15
	v_perm_b32 v198, v22, v6, s83                              // 000000003810: D1ED00C6 014E0D16
	v_perm_b32 v199, v23, v7, s83                              // 000000003818: D1ED00C7 014E0F17
	v_readlane_b32 s9, v235, 33                                // 000000003820: D2890009 000143EB
	v_readlane_b32 s8, v235, 32                                // 000000003828: D2890008 000141EB
	s_and_b32 s9, s9, 0xffff                                   // 000000003830: 8609FF09 0000FFFF
	s_or_b32 s9, s9, 0x40000                                   // 000000003838: 8709FF09 00040000
	buffer_store_dwordx4 v[196:199], v220, s[8:11], 0 offen    // 000000003840: E07C1000 8002C4DC
	v_readlane_b32 s13, v235, 35                               // 000000003848: D289000D 000147EB
	v_readlane_b32 s12, v235, 34                               // 000000003850: D289000C 000145EB
	s_and_b32 s13, s13, 0xffff                                 // 000000003858: 860DFF0D 0000FFFF
	s_or_b32 s13, s13, 0x40000                                 // 000000003860: 870DFF0D 00040000
	buffer_store_dwordx4 v[196:199], v220, s[12:15], 0 offen   // 000000003868: E07C1000 8003C4DC
	v_readlane_b32 s17, v235, 37                               // 000000003870: D2890011 00014BEB
	v_readlane_b32 s16, v235, 36                               // 000000003878: D2890010 000149EB
	s_and_b32 s17, s17, 0xffff                                 // 000000003880: 8611FF11 0000FFFF
	s_or_b32 s17, s17, 0x40000                                 // 000000003888: 8711FF11 00040000
	buffer_store_dwordx4 v[196:199], v220, s[16:19], 0 offen   // 000000003890: E07C1000 8004C4DC
	v_readlane_b32 s21, v235, 39                               // 000000003898: D2890015 00014FEB
	v_readlane_b32 s20, v235, 38                               // 0000000038A0: D2890014 00014DEB
	s_and_b32 s21, s21, 0xffff                                 // 0000000038A8: 8615FF15 0000FFFF
	s_or_b32 s21, s21, 0x40000                                 // 0000000038B0: 8715FF15 00040000
	buffer_store_dwordx4 v[196:199], v220, s[20:23], 0 offen   // 0000000038B8: E07C1000 8005C4DC
	v_readlane_b32 s25, v235, 41                               // 0000000038C0: D2890019 000153EB
	v_readlane_b32 s24, v235, 40                               // 0000000038C8: D2890018 000151EB
	s_and_b32 s25, s25, 0xffff                                 // 0000000038D0: 8619FF19 0000FFFF
	s_or_b32 s25, s25, 0x40000                                 // 0000000038D8: 8719FF19 00040000
	buffer_store_dwordx4 v[196:199], v220, s[24:27], 0 offen   // 0000000038E0: E07C1000 8006C4DC
	v_readlane_b32 s29, v235, 43                               // 0000000038E8: D289001D 000157EB
	v_readlane_b32 s28, v235, 42                               // 0000000038F0: D289001C 000155EB
	s_and_b32 s29, s29, 0xffff                                 // 0000000038F8: 861DFF1D 0000FFFF
	s_or_b32 s29, s29, 0x40000                                 // 000000003900: 871DFF1D 00040000
	buffer_store_dwordx4 v[196:199], v220, s[28:31], 0 offen   // 000000003908: E07C1000 8007C4DC
	v_readlane_b32 s33, v235, 45                               // 000000003910: D2890021 00015BEB
	v_readlane_b32 s32, v235, 44                               // 000000003918: D2890020 000159EB
	s_and_b32 s33, s33, 0xffff                                 // 000000003920: 8621FF21 0000FFFF
	s_or_b32 s33, s33, 0x40000                                 // 000000003928: 8721FF21 00040000
	buffer_store_dwordx4 v[196:199], v220, s[32:35], 0 offen   // 000000003930: E07C1000 8008C4DC
	v_readlane_b32 s37, v235, 47                               // 000000003938: D2890025 00015FEB
	v_readlane_b32 s36, v235, 46                               // 000000003940: D2890024 00015DEB
	s_and_b32 s37, s37, 0xffff                                 // 000000003948: 8625FF25 0000FFFF
	s_or_b32 s37, s37, 0x40000                                 // 000000003950: 8725FF25 00040000
	buffer_store_dwordx4 v[196:199], v220, s[36:39], 0 offen   // 000000003958: E07C1000 8009C4DC
	v_and_b32_e32 v216, 0xffff0000, v200                       // 000000003960: 27B190FF FFFF0000
	v_lshlrev_b32_e32 v200, 16, v200                           // 000000003968: 25919090
	v_and_b32_e32 v217, 0xffff0000, v201                       // 00000000396C: 27B392FF FFFF0000
	v_lshlrev_b32_e32 v201, 16, v201                           // 000000003974: 25939290
	v_and_b32_e32 v218, 0xffff0000, v202                       // 000000003978: 27B594FF FFFF0000
	v_lshlrev_b32_e32 v202, 16, v202                           // 000000003980: 25959490
	v_and_b32_e32 v219, 0xffff0000, v203                       // 000000003984: 27B796FF FFFF0000
	v_lshlrev_b32_e32 v203, 16, v203                           // 00000000398C: 25979690
	v_pk_add_f32 v[8:9], v[8:9], v[200:201]                    // 000000003990: D3B24008 18039108
	v_pk_add_f32 v[10:11], v[10:11], v[202:203]                // 000000003998: D3B2400A 1803950A
	v_pk_add_f32 v[24:25], v[24:25], v[216:217]                // 0000000039A0: D3B24018 1803B118
	v_pk_add_f32 v[26:27], v[26:27], v[218:219]                // 0000000039A8: D3B2401A 1803B51A
	v_perm_b32 v200, v24, v8, s83                              // 0000000039B0: D1ED00C8 014E1118
	v_perm_b32 v201, v25, v9, s83                              // 0000000039B8: D1ED00C9 014E1319
	v_perm_b32 v202, v26, v10, s83                             // 0000000039C0: D1ED00CA 014E151A
	v_perm_b32 v203, v27, v11, s83                             // 0000000039C8: D1ED00CB 014E171B
	buffer_store_dwordx4 v[200:203], v221, s[8:11], 0 offen    // 0000000039D0: E07C1000 8002C8DD
	buffer_store_dwordx4 v[200:203], v221, s[12:15], 0 offen   // 0000000039D8: E07C1000 8003C8DD
	buffer_store_dwordx4 v[200:203], v221, s[16:19], 0 offen   // 0000000039E0: E07C1000 8004C8DD
	buffer_store_dwordx4 v[200:203], v221, s[20:23], 0 offen   // 0000000039E8: E07C1000 8005C8DD
	buffer_store_dwordx4 v[200:203], v221, s[24:27], 0 offen   // 0000000039F0: E07C1000 8006C8DD
	buffer_store_dwordx4 v[200:203], v221, s[28:31], 0 offen   // 0000000039F8: E07C1000 8007C8DD
	buffer_store_dwordx4 v[200:203], v221, s[32:35], 0 offen   // 000000003A00: E07C1000 8008C8DD
	buffer_store_dwordx4 v[200:203], v221, s[36:39], 0 offen   // 000000003A08: E07C1000 8009C8DD
	v_and_b32_e32 v216, 0xffff0000, v204                       // 000000003A10: 27B198FF FFFF0000
	v_lshlrev_b32_e32 v204, 16, v204                           // 000000003A18: 25999890
	v_and_b32_e32 v217, 0xffff0000, v205                       // 000000003A1C: 27B39AFF FFFF0000
	v_lshlrev_b32_e32 v205, 16, v205                           // 000000003A24: 259B9A90
	v_and_b32_e32 v218, 0xffff0000, v206                       // 000000003A28: 27B59CFF FFFF0000
	v_lshlrev_b32_e32 v206, 16, v206                           // 000000003A30: 259D9C90
	v_and_b32_e32 v219, 0xffff0000, v207                       // 000000003A34: 27B79EFF FFFF0000
	v_lshlrev_b32_e32 v207, 16, v207                           // 000000003A3C: 259F9E90
	v_pk_add_f32 v[12:13], v[12:13], v[204:205]                // 000000003A40: D3B2400C 1803990C
	v_pk_add_f32 v[14:15], v[14:15], v[206:207]                // 000000003A48: D3B2400E 18039D0E
	v_pk_add_f32 v[28:29], v[28:29], v[216:217]                // 000000003A50: D3B2401C 1803B11C
	v_pk_add_f32 v[30:31], v[30:31], v[218:219]                // 000000003A58: D3B2401E 1803B51E
	v_perm_b32 v204, v28, v12, s83                             // 000000003A60: D1ED00CC 014E191C
	v_perm_b32 v205, v29, v13, s83                             // 000000003A68: D1ED00CD 014E1B1D
	v_perm_b32 v206, v30, v14, s83                             // 000000003A70: D1ED00CE 014E1D1E
	v_perm_b32 v207, v31, v15, s83                             // 000000003A78: D1ED00CF 014E1F1F
	buffer_store_dwordx4 v[204:207], v222, s[8:11], 0 offen    // 000000003A80: E07C1000 8002CCDE
	buffer_store_dwordx4 v[204:207], v222, s[12:15], 0 offen   // 000000003A88: E07C1000 8003CCDE
	buffer_store_dwordx4 v[204:207], v222, s[16:19], 0 offen   // 000000003A90: E07C1000 8004CCDE
	buffer_store_dwordx4 v[204:207], v222, s[20:23], 0 offen   // 000000003A98: E07C1000 8005CCDE
	buffer_store_dwordx4 v[204:207], v222, s[24:27], 0 offen   // 000000003AA0: E07C1000 8006CCDE
	buffer_store_dwordx4 v[204:207], v222, s[28:31], 0 offen   // 000000003AA8: E07C1000 8007CCDE
	buffer_store_dwordx4 v[204:207], v222, s[32:35], 0 offen   // 000000003AB0: E07C1000 8008CCDE
	buffer_store_dwordx4 v[204:207], v222, s[36:39], 0 offen   // 000000003AB8: E07C1000 8009CCDE
	v_and_b32_e32 v216, 0xffff0000, v208                       // 000000003AC0: 27B1A0FF FFFF0000
	v_lshlrev_b32_e32 v208, 16, v208                           // 000000003AC8: 25A1A090
	v_and_b32_e32 v217, 0xffff0000, v209                       // 000000003ACC: 27B3A2FF FFFF0000
	v_lshlrev_b32_e32 v209, 16, v209                           // 000000003AD4: 25A3A290
	v_and_b32_e32 v218, 0xffff0000, v210                       // 000000003AD8: 27B5A4FF FFFF0000
	v_lshlrev_b32_e32 v210, 16, v210                           // 000000003AE0: 25A5A490
	v_and_b32_e32 v219, 0xffff0000, v211                       // 000000003AE4: 27B7A6FF FFFF0000
	v_lshlrev_b32_e32 v211, 16, v211                           // 000000003AEC: 25A7A690
	v_pk_add_f32 v[16:17], v[16:17], v[208:209]                // 000000003AF0: D3B24010 1803A110
	v_pk_add_f32 v[18:19], v[18:19], v[210:211]                // 000000003AF8: D3B24012 1803A512
	v_pk_add_f32 v[32:33], v[32:33], v[216:217]                // 000000003B00: D3B24020 1803B120
	v_pk_add_f32 v[34:35], v[34:35], v[218:219]                // 000000003B08: D3B24022 1803B522
	v_perm_b32 v208, v32, v16, s83                             // 000000003B10: D1ED00D0 014E2120
	v_perm_b32 v209, v33, v17, s83                             // 000000003B18: D1ED00D1 014E2321
	v_perm_b32 v210, v34, v18, s83                             // 000000003B20: D1ED00D2 014E2522
	v_perm_b32 v211, v35, v19, s83                             // 000000003B28: D1ED00D3 014E2723
	buffer_store_dwordx4 v[208:211], v223, s[8:11], 0 offen    // 000000003B30: E07C1000 8002D0DF
	buffer_store_dwordx4 v[208:211], v223, s[12:15], 0 offen   // 000000003B38: E07C1000 8003D0DF
	buffer_store_dwordx4 v[208:211], v223, s[16:19], 0 offen   // 000000003B40: E07C1000 8004D0DF
	buffer_store_dwordx4 v[208:211], v223, s[20:23], 0 offen   // 000000003B48: E07C1000 8005D0DF
	buffer_store_dwordx4 v[208:211], v223, s[24:27], 0 offen   // 000000003B50: E07C1000 8006D0DF
	buffer_store_dwordx4 v[208:211], v223, s[28:31], 0 offen   // 000000003B58: E07C1000 8007D0DF
	buffer_store_dwordx4 v[208:211], v223, s[32:35], 0 offen   // 000000003B60: E07C1000 8008D0DF
	buffer_store_dwordx4 v[208:211], v223, s[36:39], 0 offen   // 000000003B68: E07C1000 8009D0DF
	v_pk_mov_b32 v[36:37], 0, 0                                // 000000003B70: D3B34024 18010080
	v_pk_mov_b32 v[38:39], 0, 0                                // 000000003B78: D3B34026 18010080
	v_pk_add_f32 v[36:37], v[36:37], v[4:5]                    // 000000003B80: D3B24024 18020924
	v_pk_add_f32 v[36:37], v[36:37], v[6:7]                    // 000000003B88: D3B24024 18020D24
	v_pk_add_f32 v[36:37], v[36:37], v[8:9]                    // 000000003B90: D3B24024 18021124
	v_pk_add_f32 v[36:37], v[36:37], v[10:11]                  // 000000003B98: D3B24024 18021524
	v_pk_add_f32 v[36:37], v[36:37], v[12:13]                  // 000000003BA0: D3B24024 18021924
	v_pk_add_f32 v[36:37], v[36:37], v[14:15]                  // 000000003BA8: D3B24024 18021D24
	v_pk_add_f32 v[36:37], v[36:37], v[16:17]                  // 000000003BB0: D3B24024 18022124
	v_pk_add_f32 v[36:37], v[36:37], v[18:19]                  // 000000003BB8: D3B24024 18022524
	v_pk_add_f32 v[36:37], v[36:37], v[20:21]                  // 000000003BC0: D3B24024 18022924
	v_pk_add_f32 v[36:37], v[36:37], v[22:23]                  // 000000003BC8: D3B24024 18022D24
	v_pk_add_f32 v[36:37], v[36:37], v[24:25]                  // 000000003BD0: D3B24024 18023124
	v_pk_add_f32 v[36:37], v[36:37], v[26:27]                  // 000000003BD8: D3B24024 18023524
	v_pk_add_f32 v[36:37], v[36:37], v[28:29]                  // 000000003BE0: D3B24024 18023924
	v_pk_add_f32 v[36:37], v[36:37], v[30:31]                  // 000000003BE8: D3B24024 18023D24
	v_pk_add_f32 v[36:37], v[36:37], v[32:33]                  // 000000003BF0: D3B24024 18024124
	v_pk_add_f32 v[36:37], v[36:37], v[34:35]                  // 000000003BF8: D3B24024 18024524
	v_pk_fma_f32 v[38:39], v[4:5], v[4:5], v[38:39]            // 000000003C00: D3B04026 1C9A0904
	v_pk_fma_f32 v[38:39], v[6:7], v[6:7], v[38:39]            // 000000003C08: D3B04026 1C9A0D06
	v_pk_fma_f32 v[38:39], v[8:9], v[8:9], v[38:39]            // 000000003C10: D3B04026 1C9A1108
	v_pk_fma_f32 v[38:39], v[10:11], v[10:11], v[38:39]        // 000000003C18: D3B04026 1C9A150A
	v_pk_fma_f32 v[38:39], v[12:13], v[12:13], v[38:39]        // 000000003C20: D3B04026 1C9A190C
	v_pk_fma_f32 v[38:39], v[14:15], v[14:15], v[38:39]        // 000000003C28: D3B04026 1C9A1D0E
	v_pk_fma_f32 v[38:39], v[16:17], v[16:17], v[38:39]        // 000000003C30: D3B04026 1C9A2110
	v_pk_fma_f32 v[38:39], v[18:19], v[18:19], v[38:39]        // 000000003C38: D3B04026 1C9A2512
	v_pk_fma_f32 v[38:39], v[20:21], v[20:21], v[38:39]        // 000000003C40: D3B04026 1C9A2914
	v_pk_fma_f32 v[38:39], v[22:23], v[22:23], v[38:39]        // 000000003C48: D3B04026 1C9A2D16
	v_pk_fma_f32 v[38:39], v[24:25], v[24:25], v[38:39]        // 000000003C50: D3B04026 1C9A3118
	v_pk_fma_f32 v[38:39], v[26:27], v[26:27], v[38:39]        // 000000003C58: D3B04026 1C9A351A
	v_pk_fma_f32 v[38:39], v[28:29], v[28:29], v[38:39]        // 000000003C60: D3B04026 1C9A391C
	v_pk_fma_f32 v[38:39], v[30:31], v[30:31], v[38:39]        // 000000003C68: D3B04026 1C9A3D1E
	v_pk_fma_f32 v[38:39], v[32:33], v[32:33], v[38:39]        // 000000003C70: D3B04026 1C9A4120
	v_pk_fma_f32 v[38:39], v[34:35], v[34:35], v[38:39]        // 000000003C78: D3B04026 1C9A4522
	v_add_f32_e32 v36, v36, v37                                // 000000003C80: 02484B24
	v_add_f32_e32 v38, v38, v39                                // 000000003C84: 024C4F26
	ds_write_b32 v229, v36 offset:1024                         // 000000003C88: D81A0400 000024E5
	ds_write_b32 v229, v38 offset:2048                         // 000000003C90: D81A0800 000026E5
	s_waitcnt lgkmcnt(0)                                       // 000000003C98: BF8CC07F
	s_barrier                                                  // 000000003C9C: BF8A0000
	ds_read_b32 v36, v228 offset:1024                          // 000000003CA0: D86C0400 240000E4
	ds_read_b32 v37, v228 offset:1088                          // 000000003CA8: D86C0440 250000E4
	ds_read_b32 v38, v228 offset:1152                          // 000000003CB0: D86C0480 260000E4
	ds_read_b32 v39, v228 offset:1216                          // 000000003CB8: D86C04C0 270000E4
	ds_read_b32 v40, v228 offset:1280                          // 000000003CC0: D86C0500 280000E4
	ds_read_b32 v41, v228 offset:1344                          // 000000003CC8: D86C0540 290000E4
	ds_read_b32 v42, v228 offset:1408                          // 000000003CD0: D86C0580 2A0000E4
	ds_read_b32 v43, v228 offset:1472                          // 000000003CD8: D86C05C0 2B0000E4
	ds_read_b32 v44, v228 offset:1536                          // 000000003CE0: D86C0600 2C0000E4
	ds_read_b32 v45, v228 offset:1600                          // 000000003CE8: D86C0640 2D0000E4
	ds_read_b32 v46, v228 offset:1664                          // 000000003CF0: D86C0680 2E0000E4
	ds_read_b32 v47, v228 offset:1728                          // 000000003CF8: D86C06C0 2F0000E4
	ds_read_b32 v48, v228 offset:1792                          // 000000003D00: D86C0700 300000E4
	ds_read_b32 v49, v228 offset:1856                          // 000000003D08: D86C0740 310000E4
	ds_read_b32 v50, v228 offset:1920                          // 000000003D10: D86C0780 320000E4
	ds_read_b32 v51, v228 offset:1984                          // 000000003D18: D86C07C0 330000E4
	ds_read_b32 v52, v228 offset:2048                          // 000000003D20: D86C0800 340000E4
	ds_read_b32 v53, v228 offset:2112                          // 000000003D28: D86C0840 350000E4
	ds_read_b32 v54, v228 offset:2176                          // 000000003D30: D86C0880 360000E4
	ds_read_b32 v55, v228 offset:2240                          // 000000003D38: D86C08C0 370000E4
	ds_read_b32 v56, v228 offset:2304                          // 000000003D40: D86C0900 380000E4
	ds_read_b32 v57, v228 offset:2368                          // 000000003D48: D86C0940 390000E4
	ds_read_b32 v58, v228 offset:2432                          // 000000003D50: D86C0980 3A0000E4
	ds_read_b32 v59, v228 offset:2496                          // 000000003D58: D86C09C0 3B0000E4
	ds_read_b32 v60, v228 offset:2560                          // 000000003D60: D86C0A00 3C0000E4
	ds_read_b32 v61, v228 offset:2624                          // 000000003D68: D86C0A40 3D0000E4
	ds_read_b32 v62, v228 offset:2688                          // 000000003D70: D86C0A80 3E0000E4
	ds_read_b32 v63, v228 offset:2752                          // 000000003D78: D86C0AC0 3F0000E4
	ds_read_b32 v64, v228 offset:2816                          // 000000003D80: D86C0B00 400000E4
	ds_read_b32 v65, v228 offset:2880                          // 000000003D88: D86C0B40 410000E4
	ds_read_b32 v66, v228 offset:2944                          // 000000003D90: D86C0B80 420000E4
	ds_read_b32 v67, v228 offset:3008                          // 000000003D98: D86C0BC0 430000E4
	s_waitcnt lgkmcnt(0)                                       // 000000003DA0: BF8CC07F
	v_pk_add_f32 v[36:37], v[36:37], v[38:39]                  // 000000003DA4: D3B24024 18024D24
	v_pk_add_f32 v[36:37], v[36:37], v[40:41]                  // 000000003DAC: D3B24024 18025124
	v_pk_add_f32 v[36:37], v[36:37], v[42:43]                  // 000000003DB4: D3B24024 18025524
	v_pk_add_f32 v[36:37], v[36:37], v[44:45]                  // 000000003DBC: D3B24024 18025924
	v_pk_add_f32 v[36:37], v[36:37], v[46:47]                  // 000000003DC4: D3B24024 18025D24
	v_pk_add_f32 v[36:37], v[36:37], v[48:49]                  // 000000003DCC: D3B24024 18026124
	v_pk_add_f32 v[36:37], v[36:37], v[50:51]                  // 000000003DD4: D3B24024 18026524
	v_add_f32_e32 v36, v36, v37                                // 000000003DDC: 02484B24
	v_pk_add_f32 v[52:53], v[52:53], v[54:55]                  // 000000003DE0: D3B24034 18026D34
	v_pk_add_f32 v[52:53], v[52:53], v[56:57]                  // 000000003DE8: D3B24034 18027134
	v_pk_add_f32 v[52:53], v[52:53], v[58:59]                  // 000000003DF0: D3B24034 18027534
	v_pk_add_f32 v[52:53], v[52:53], v[60:61]                  // 000000003DF8: D3B24034 18027934
	v_pk_add_f32 v[52:53], v[52:53], v[62:63]                  // 000000003E00: D3B24034 18027D34
	v_pk_add_f32 v[52:53], v[52:53], v[64:65]                  // 000000003E08: D3B24034 18028134
	v_pk_add_f32 v[52:53], v[52:53], v[66:67]                  // 000000003E10: D3B24034 18028534
	v_add_f32_e32 v52, v52, v53                                // 000000003E18: 02686B34
	v_mov_b32_dpp v216, v36 row_ror:8 row_mask:0xf bank_mask:0xf// 000000003E1C: 7FB002FA FF012824
	v_add_f32_e32 v36, v216, v36                               // 000000003E24: 024849D8
	v_mov_b32_dpp v217, v52 row_ror:8 row_mask:0xf bank_mask:0xf// 000000003E28: 7FB202FA FF012834
	v_add_f32_e32 v52, v217, v52                               // 000000003E30: 026869D9
	v_mov_b32_dpp v216, v36 row_ror:4 row_mask:0xf bank_mask:0xf// 000000003E34: 7FB002FA FF012424
	v_add_f32_e32 v36, v216, v36                               // 000000003E3C: 024849D8
	v_mov_b32_dpp v217, v52 row_ror:4 row_mask:0xf bank_mask:0xf// 000000003E40: 7FB202FA FF012434
	v_add_f32_e32 v52, v217, v52                               // 000000003E48: 026869D9
	v_mov_b32_dpp v216, v36 row_ror:2 row_mask:0xf bank_mask:0xf// 000000003E4C: 7FB002FA FF012224
	v_add_f32_e32 v36, v216, v36                               // 000000003E54: 024849D8
	v_mov_b32_dpp v217, v52 row_ror:2 row_mask:0xf bank_mask:0xf// 000000003E58: 7FB202FA FF012234
	v_add_f32_e32 v52, v217, v52                               // 000000003E60: 026869D9
	v_mov_b32_dpp v216, v36 row_ror:1 row_mask:0xf bank_mask:0xf// 000000003E64: 7FB002FA FF012124
	v_add_f32_e32 v36, v216, v36                               // 000000003E6C: 024849D8
	v_mov_b32_dpp v217, v52 row_ror:1 row_mask:0xf bank_mask:0xf// 000000003E70: 7FB202FA FF012134
	v_add_f32_e32 v52, v217, v52                               // 000000003E78: 026869D9
	v_mul_f32_e32 v36, v36, v230                               // 000000003E7C: 0A49CD24
	v_mul_f32_e32 v38, v52, v230                               // 000000003E80: 0A4DCD34
	v_add_f32_e64 v38, v38, s63                                // 000000003E84: D1010026 00007F26
	v_rsq_f32_e32 v38, v38                                     // 000000003E8C: 7E4C4926
	s_nop 1                                                    // 000000003E90: BF800001
	v_mov_b32_e32 v39, v38                                     // 000000003E94: 7E4E0326
	v_pk_mul_f32 v[4:5], v[4:5], v[38:39]                      // 000000003E98: D3B14004 18024D04
	v_pk_mul_f32 v[6:7], v[6:7], v[38:39]                      // 000000003EA0: D3B14006 18024D06
	v_pk_mul_f32 v[20:21], v[20:21], v[38:39]                  // 000000003EA8: D3B14014 18024D14
	v_pk_mul_f32 v[22:23], v[22:23], v[38:39]                  // 000000003EB0: D3B14016 18024D16
	s_waitcnt vmcnt(38)                                        // 000000003EB8: BF8C8F76
	v_and_b32_e32 v216, 0xffff0000, v164                       // 000000003EBC: 27B148FF FFFF0000
	v_lshlrev_b32_e32 v164, 16, v164                           // 000000003EC4: 25494890
	v_and_b32_e32 v217, 0xffff0000, v165                       // 000000003EC8: 27B34AFF FFFF0000
	v_lshlrev_b32_e32 v165, 16, v165                           // 000000003ED0: 254B4A90
	v_and_b32_e32 v218, 0xffff0000, v166                       // 000000003ED4: 27B54CFF FFFF0000
	v_lshlrev_b32_e32 v166, 16, v166                           // 000000003EDC: 254D4C90
	v_and_b32_e32 v219, 0xffff0000, v167                       // 000000003EE0: 27B74EFF FFFF0000
	v_lshlrev_b32_e32 v167, 16, v167                           // 000000003EE8: 254F4E90
	v_pk_mul_f32 v[4:5], v[4:5], v[164:165]                    // 000000003EEC: D3B14004 18034904
	v_pk_mul_f32 v[6:7], v[6:7], v[166:167]                    // 000000003EF4: D3B14006 18034D06
	v_pk_mul_f32 v[20:21], v[20:21], v[216:217]                // 000000003EFC: D3B14014 1803B114
	v_pk_mul_f32 v[22:23], v[22:23], v[218:219]                // 000000003F04: D3B14016 1803B516
	v_and_b32_e32 v216, 0xffff0000, v180                       // 000000003F0C: 27B168FF FFFF0000
	v_lshlrev_b32_e32 v180, 16, v180                           // 000000003F14: 25696890
	v_and_b32_e32 v217, 0xffff0000, v181                       // 000000003F18: 27B36AFF FFFF0000
	v_lshlrev_b32_e32 v181, 16, v181                           // 000000003F20: 256B6A90
	v_and_b32_e32 v218, 0xffff0000, v182                       // 000000003F24: 27B56CFF FFFF0000
	v_lshlrev_b32_e32 v182, 16, v182                           // 000000003F2C: 256D6C90
	v_and_b32_e32 v219, 0xffff0000, v183                       // 000000003F30: 27B76EFF FFFF0000
	v_lshlrev_b32_e32 v183, 16, v183                           // 000000003F38: 256F6E90
	v_pk_add_f32 v[4:5], v[4:5], v[180:181]                    // 000000003F3C: D3B24004 18036904
	v_pk_add_f32 v[6:7], v[6:7], v[182:183]                    // 000000003F44: D3B24006 18036D06
	v_pk_add_f32 v[20:21], v[20:21], v[216:217]                // 000000003F4C: D3B24014 1803B114
	v_pk_add_f32 v[22:23], v[22:23], v[218:219]                // 000000003F54: D3B24016 1803B516
	v_mul_f32_e32 v4, v4, v68                                  // 000000003F5C: 0A088904
	v_mul_f32_e32 v5, v5, v70                                  // 000000003F60: 0A0A8D05
	v_mul_f32_e32 v6, v6, v72                                  // 000000003F64: 0A0C9106
	v_mul_f32_e32 v7, v7, v74                                  // 000000003F68: 0A0E9507
	v_mul_f32_e32 v20, v20, v69                                // 000000003F6C: 0A288B14
	v_mul_f32_e32 v21, v21, v71                                // 000000003F70: 0A2A8F15
	v_mul_f32_e32 v22, v22, v73                                // 000000003F74: 0A2C9316
	v_mul_f32_e32 v23, v23, v75                                // 000000003F78: 0A2E9717
	v_max3_f32 v232, |v4|, |v20|, v232                         // 000000003F7C: D1D303E8 07A22904
	v_max3_f32 v232, |v5|, |v21|, v232                         // 000000003F84: D1D303E8 07A22B05
	v_max3_f32 v232, |v6|, |v22|, v232                         // 000000003F8C: D1D303E8 07A22D06
	v_max3_f32 v232, |v7|, |v23|, v232                         // 000000003F94: D1D303E8 07A22F07
	v_pk_mul_f32 v[8:9], v[8:9], v[38:39]                      // 000000003F9C: D3B14008 18024D08
	v_pk_mul_f32 v[10:11], v[10:11], v[38:39]                  // 000000003FA4: D3B1400A 18024D0A
	v_pk_mul_f32 v[24:25], v[24:25], v[38:39]                  // 000000003FAC: D3B14018 18024D18
	v_pk_mul_f32 v[26:27], v[26:27], v[38:39]                  // 000000003FB4: D3B1401A 18024D1A
	s_waitcnt vmcnt(36)                                        // 000000003FBC: BF8C8F74
	v_and_b32_e32 v216, 0xffff0000, v168                       // 000000003FC0: 27B150FF FFFF0000
	v_lshlrev_b32_e32 v168, 16, v168                           // 000000003FC8: 25515090
	v_and_b32_e32 v217, 0xffff0000, v169                       // 000000003FCC: 27B352FF FFFF0000
	v_lshlrev_b32_e32 v169, 16, v169                           // 000000003FD4: 25535290
	v_and_b32_e32 v218, 0xffff0000, v170                       // 000000003FD8: 27B554FF FFFF0000
	v_lshlrev_b32_e32 v170, 16, v170                           // 000000003FE0: 25555490
	v_and_b32_e32 v219, 0xffff0000, v171                       // 000000003FE4: 27B756FF FFFF0000
	v_lshlrev_b32_e32 v171, 16, v171                           // 000000003FEC: 25575690
	v_pk_mul_f32 v[8:9], v[8:9], v[168:169]                    // 000000003FF0: D3B14008 18035108
	v_pk_mul_f32 v[10:11], v[10:11], v[170:171]                // 000000003FF8: D3B1400A 1803550A
	v_pk_mul_f32 v[24:25], v[24:25], v[216:217]                // 000000004000: D3B14018 1803B118
	v_pk_mul_f32 v[26:27], v[26:27], v[218:219]                // 000000004008: D3B1401A 1803B51A
	v_and_b32_e32 v216, 0xffff0000, v184                       // 000000004010: 27B170FF FFFF0000
	v_lshlrev_b32_e32 v184, 16, v184                           // 000000004018: 25717090
	v_and_b32_e32 v217, 0xffff0000, v185                       // 00000000401C: 27B372FF FFFF0000
	v_lshlrev_b32_e32 v185, 16, v185                           // 000000004024: 25737290
	v_and_b32_e32 v218, 0xffff0000, v186                       // 000000004028: 27B574FF FFFF0000
	v_lshlrev_b32_e32 v186, 16, v186                           // 000000004030: 25757490
	v_and_b32_e32 v219, 0xffff0000, v187                       // 000000004034: 27B776FF FFFF0000
	v_lshlrev_b32_e32 v187, 16, v187                           // 00000000403C: 25777690
	v_pk_add_f32 v[8:9], v[8:9], v[184:185]                    // 000000004040: D3B24008 18037108
	v_pk_add_f32 v[10:11], v[10:11], v[186:187]                // 000000004048: D3B2400A 1803750A
	v_pk_add_f32 v[24:25], v[24:25], v[216:217]                // 000000004050: D3B24018 1803B118
	v_pk_add_f32 v[26:27], v[26:27], v[218:219]                // 000000004058: D3B2401A 1803B51A
	v_mul_f32_e32 v8, v8, v76                                  // 000000004060: 0A109908
	v_mul_f32_e32 v9, v9, v78                                  // 000000004064: 0A129D09
	v_mul_f32_e32 v10, v10, v80                                // 000000004068: 0A14A10A
	v_mul_f32_e32 v11, v11, v82                                // 00000000406C: 0A16A50B
	v_mul_f32_e32 v24, v24, v77                                // 000000004070: 0A309B18
	v_mul_f32_e32 v25, v25, v79                                // 000000004074: 0A329F19
	v_mul_f32_e32 v26, v26, v81                                // 000000004078: 0A34A31A
	v_mul_f32_e32 v27, v27, v83                                // 00000000407C: 0A36A71B
	v_max3_f32 v232, |v8|, |v24|, v232                         // 000000004080: D1D303E8 07A23108
	v_max3_f32 v232, |v9|, |v25|, v232                         // 000000004088: D1D303E8 07A23309
	v_max3_f32 v232, |v10|, |v26|, v232                        // 000000004090: D1D303E8 07A2350A
	v_max3_f32 v232, |v11|, |v27|, v232                        // 000000004098: D1D303E8 07A2370B
	v_pk_mul_f32 v[12:13], v[12:13], v[38:39]                  // 0000000040A0: D3B1400C 18024D0C
	v_pk_mul_f32 v[14:15], v[14:15], v[38:39]                  // 0000000040A8: D3B1400E 18024D0E
	v_pk_mul_f32 v[28:29], v[28:29], v[38:39]                  // 0000000040B0: D3B1401C 18024D1C
	v_pk_mul_f32 v[30:31], v[30:31], v[38:39]                  // 0000000040B8: D3B1401E 18024D1E
	s_waitcnt vmcnt(34)                                        // 0000000040C0: BF8C8F72
	v_and_b32_e32 v216, 0xffff0000, v172                       // 0000000040C4: 27B158FF FFFF0000
	v_lshlrev_b32_e32 v172, 16, v172                           // 0000000040CC: 25595890
	v_and_b32_e32 v217, 0xffff0000, v173                       // 0000000040D0: 27B35AFF FFFF0000
	v_lshlrev_b32_e32 v173, 16, v173                           // 0000000040D8: 255B5A90
	v_and_b32_e32 v218, 0xffff0000, v174                       // 0000000040DC: 27B55CFF FFFF0000
	v_lshlrev_b32_e32 v174, 16, v174                           // 0000000040E4: 255D5C90
	v_and_b32_e32 v219, 0xffff0000, v175                       // 0000000040E8: 27B75EFF FFFF0000
	v_lshlrev_b32_e32 v175, 16, v175                           // 0000000040F0: 255F5E90
	v_pk_mul_f32 v[12:13], v[12:13], v[172:173]                // 0000000040F4: D3B1400C 1803590C
	v_pk_mul_f32 v[14:15], v[14:15], v[174:175]                // 0000000040FC: D3B1400E 18035D0E
	v_pk_mul_f32 v[28:29], v[28:29], v[216:217]                // 000000004104: D3B1401C 1803B11C
	v_pk_mul_f32 v[30:31], v[30:31], v[218:219]                // 00000000410C: D3B1401E 1803B51E
	v_and_b32_e32 v216, 0xffff0000, v188                       // 000000004114: 27B178FF FFFF0000
	v_lshlrev_b32_e32 v188, 16, v188                           // 00000000411C: 25797890
	v_and_b32_e32 v217, 0xffff0000, v189                       // 000000004120: 27B37AFF FFFF0000
	v_lshlrev_b32_e32 v189, 16, v189                           // 000000004128: 257B7A90
	v_and_b32_e32 v218, 0xffff0000, v190                       // 00000000412C: 27B57CFF FFFF0000
	v_lshlrev_b32_e32 v190, 16, v190                           // 000000004134: 257D7C90
	v_and_b32_e32 v219, 0xffff0000, v191                       // 000000004138: 27B77EFF FFFF0000
	v_lshlrev_b32_e32 v191, 16, v191                           // 000000004140: 257F7E90
	v_pk_add_f32 v[12:13], v[12:13], v[188:189]                // 000000004144: D3B2400C 1803790C
	v_pk_add_f32 v[14:15], v[14:15], v[190:191]                // 00000000414C: D3B2400E 18037D0E
	v_pk_add_f32 v[28:29], v[28:29], v[216:217]                // 000000004154: D3B2401C 1803B11C
	v_pk_add_f32 v[30:31], v[30:31], v[218:219]                // 00000000415C: D3B2401E 1803B51E
	v_mul_f32_e32 v12, v12, v84                                // 000000004164: 0A18A90C
	v_mul_f32_e32 v13, v13, v86                                // 000000004168: 0A1AAD0D
	v_mul_f32_e32 v14, v14, v88                                // 00000000416C: 0A1CB10E
	v_mul_f32_e32 v15, v15, v90                                // 000000004170: 0A1EB50F
	v_mul_f32_e32 v28, v28, v85                                // 000000004174: 0A38AB1C
	v_mul_f32_e32 v29, v29, v87                                // 000000004178: 0A3AAF1D
	v_mul_f32_e32 v30, v30, v89                                // 00000000417C: 0A3CB31E
	v_mul_f32_e32 v31, v31, v91                                // 000000004180: 0A3EB71F
	v_max3_f32 v232, |v12|, |v28|, v232                        // 000000004184: D1D303E8 07A2390C
	v_max3_f32 v232, |v13|, |v29|, v232                        // 00000000418C: D1D303E8 07A23B0D
	v_max3_f32 v232, |v14|, |v30|, v232                        // 000000004194: D1D303E8 07A23D0E
	v_max3_f32 v232, |v15|, |v31|, v232                        // 00000000419C: D1D303E8 07A23F0F
	v_pk_mul_f32 v[16:17], v[16:17], v[38:39]                  // 0000000041A4: D3B14010 18024D10
	v_pk_mul_f32 v[18:19], v[18:19], v[38:39]                  // 0000000041AC: D3B14012 18024D12
	v_pk_mul_f32 v[32:33], v[32:33], v[38:39]                  // 0000000041B4: D3B14020 18024D20
	v_pk_mul_f32 v[34:35], v[34:35], v[38:39]                  // 0000000041BC: D3B14022 18024D22
	s_waitcnt vmcnt(32)                                        // 0000000041C4: BF8C8F70
	v_and_b32_e32 v216, 0xffff0000, v176                       // 0000000041C8: 27B160FF FFFF0000
	v_lshlrev_b32_e32 v176, 16, v176                           // 0000000041D0: 25616090
	v_and_b32_e32 v217, 0xffff0000, v177                       // 0000000041D4: 27B362FF FFFF0000
	v_lshlrev_b32_e32 v177, 16, v177                           // 0000000041DC: 25636290
	v_and_b32_e32 v218, 0xffff0000, v178                       // 0000000041E0: 27B564FF FFFF0000
	v_lshlrev_b32_e32 v178, 16, v178                           // 0000000041E8: 25656490
	v_and_b32_e32 v219, 0xffff0000, v179                       // 0000000041EC: 27B766FF FFFF0000
	v_lshlrev_b32_e32 v179, 16, v179                           // 0000000041F4: 25676690
	v_pk_mul_f32 v[16:17], v[16:17], v[176:177]                // 0000000041F8: D3B14010 18036110
	v_pk_mul_f32 v[18:19], v[18:19], v[178:179]                // 000000004200: D3B14012 18036512
	v_pk_mul_f32 v[32:33], v[32:33], v[216:217]                // 000000004208: D3B14020 1803B120
	v_pk_mul_f32 v[34:35], v[34:35], v[218:219]                // 000000004210: D3B14022 1803B522
	v_and_b32_e32 v216, 0xffff0000, v192                       // 000000004218: 27B180FF FFFF0000
	v_lshlrev_b32_e32 v192, 16, v192                           // 000000004220: 25818090
	v_and_b32_e32 v217, 0xffff0000, v193                       // 000000004224: 27B382FF FFFF0000
	v_lshlrev_b32_e32 v193, 16, v193                           // 00000000422C: 25838290
	v_and_b32_e32 v218, 0xffff0000, v194                       // 000000004230: 27B584FF FFFF0000
	v_lshlrev_b32_e32 v194, 16, v194                           // 000000004238: 25858490
	v_and_b32_e32 v219, 0xffff0000, v195                       // 00000000423C: 27B786FF FFFF0000
	v_lshlrev_b32_e32 v195, 16, v195                           // 000000004244: 25878690
	v_pk_add_f32 v[16:17], v[16:17], v[192:193]                // 000000004248: D3B24010 18038110
	v_pk_add_f32 v[18:19], v[18:19], v[194:195]                // 000000004250: D3B24012 18038512
	v_pk_add_f32 v[32:33], v[32:33], v[216:217]                // 000000004258: D3B24020 1803B120
	v_pk_add_f32 v[34:35], v[34:35], v[218:219]                // 000000004260: D3B24022 1803B522
	v_mul_f32_e32 v16, v16, v92                                // 000000004268: 0A20B910
	v_mul_f32_e32 v17, v17, v94                                // 00000000426C: 0A22BD11
	v_mul_f32_e32 v18, v18, v96                                // 000000004270: 0A24C112
	v_mul_f32_e32 v19, v19, v98                                // 000000004274: 0A26C513
	v_mul_f32_e32 v32, v32, v93                                // 000000004278: 0A40BB20
	v_mul_f32_e32 v33, v33, v95                                // 00000000427C: 0A42BF21
	v_mul_f32_e32 v34, v34, v97                                // 000000004280: 0A44C322
	v_mul_f32_e32 v35, v35, v99                                // 000000004284: 0A46C723
	v_max3_f32 v232, |v16|, |v32|, v232                        // 000000004288: D1D303E8 07A24110
	v_max3_f32 v232, |v17|, |v33|, v232                        // 000000004290: D1D303E8 07A24311
	v_max3_f32 v232, |v18|, |v34|, v232                        // 000000004298: D1D303E8 07A24512
	v_max3_f32 v232, |v19|, |v35|, v232                        // 0000000042A0: D1D303E8 07A24713
	ds_write_b32 v229, v232 offset:1024                        // 0000000042A8: D81A0400 0000E8E5
	s_waitcnt lgkmcnt(0)                                       // 0000000042B0: BF8CC07F
	s_barrier                                                  // 0000000042B4: BF8A0000
	ds_read_b32 v36, v228 offset:1024                          // 0000000042B8: D86C0400 240000E4
	ds_read_b32 v37, v228 offset:1088                          // 0000000042C0: D86C0440 250000E4
	ds_read_b32 v38, v228 offset:1152                          // 0000000042C8: D86C0480 260000E4
	ds_read_b32 v39, v228 offset:1216                          // 0000000042D0: D86C04C0 270000E4
	ds_read_b32 v40, v228 offset:1280                          // 0000000042D8: D86C0500 280000E4
	ds_read_b32 v41, v228 offset:1344                          // 0000000042E0: D86C0540 290000E4
	ds_read_b32 v42, v228 offset:1408                          // 0000000042E8: D86C0580 2A0000E4
	ds_read_b32 v43, v228 offset:1472                          // 0000000042F0: D86C05C0 2B0000E4
	ds_read_b32 v44, v228 offset:1536                          // 0000000042F8: D86C0600 2C0000E4
	ds_read_b32 v45, v228 offset:1600                          // 000000004300: D86C0640 2D0000E4
	ds_read_b32 v46, v228 offset:1664                          // 000000004308: D86C0680 2E0000E4
	ds_read_b32 v47, v228 offset:1728                          // 000000004310: D86C06C0 2F0000E4
	ds_read_b32 v48, v228 offset:1792                          // 000000004318: D86C0700 300000E4
	ds_read_b32 v49, v228 offset:1856                          // 000000004320: D86C0740 310000E4
	ds_read_b32 v50, v228 offset:1920                          // 000000004328: D86C0780 320000E4
	ds_read_b32 v51, v228 offset:1984                          // 000000004330: D86C07C0 330000E4
	s_waitcnt lgkmcnt(0)                                       // 000000004338: BF8CC07F
	v_mov_b32_e32 v232, 0x358637bd                             // 00000000433C: 7FD002FF 358637BD
	v_max3_f32 v232, |v36|, |v37|, v232                        // 000000004344: D1D303E8 07A24B24
	v_max3_f32 v232, |v38|, |v39|, v232                        // 00000000434C: D1D303E8 07A24F26
	v_max3_f32 v232, |v40|, |v41|, v232                        // 000000004354: D1D303E8 07A25328
	v_max3_f32 v232, |v42|, |v43|, v232                        // 00000000435C: D1D303E8 07A2572A
	v_max3_f32 v232, |v44|, |v45|, v232                        // 000000004364: D1D303E8 07A25B2C
	v_max3_f32 v232, |v46|, |v47|, v232                        // 00000000436C: D1D303E8 07A25F2E
	v_max3_f32 v232, |v48|, |v49|, v232                        // 000000004374: D1D303E8 07A26330
	v_max3_f32 v232, |v50|, |v51|, v232                        // 00000000437C: D1D303E8 07A26732
	s_nop 1                                                    // 000000004384: BF800001
	v_mov_b32_dpp v216, v232 row_ror:8 row_mask:0xf bank_mask:0xf// 000000004388: 7FB002FA FF0128E8
	v_max_f32_e32 v232, v216, v232                             // 000000004390: 17D1D1D8
	s_nop 1                                                    // 000000004394: BF800001
	v_mov_b32_dpp v216, v232 row_ror:4 row_mask:0xf bank_mask:0xf// 000000004398: 7FB002FA FF0124E8
	v_max_f32_e32 v232, v216, v232                             // 0000000043A0: 17D1D1D8
	s_nop 1                                                    // 0000000043A4: BF800001
	v_mov_b32_dpp v216, v232 row_ror:2 row_mask:0xf bank_mask:0xf// 0000000043A8: 7FB002FA FF0122E8
	v_max_f32_e32 v232, v216, v232                             // 0000000043B0: 17D1D1D8
	s_nop 1                                                    // 0000000043B4: BF800001
	v_mov_b32_dpp v216, v232 row_ror:1 row_mask:0xf bank_mask:0xf// 0000000043B8: 7FB002FA FF0121E8
	v_max_f32_e32 v232, v216, v232                             // 0000000043C0: 17D1D1D8
	s_nop 1                                                    // 0000000043C4: BF800001
	v_mov_b32_e32 v216, 0x3c010204                             // 0000000043C8: 7FB002FF 3C010204
	v_mul_f32_e32 v232, v232, v216                             // 0000000043D0: 0BD1B1E8
	s_lshr_b32 s86, s92, 3                                     // 0000000043D4: 8F56835C
	s_mul_i32 s84, s86, s60                                    // 0000000043D8: 92543C56
	s_add_i32 s84, s84, s2                                     // 0000000043DC: 81540254
	s_lshl_b32 s84, s84, 2                                     // 0000000043E0: 8E548254
	v_readfirstlane_b32 s85, v232                              // 0000000043E4: 7EAA05E8
	v_readlane_b32 s9, v235, 49                                // 0000000043E8: D2890009 000163EB
	v_readlane_b32 s8, v235, 48                                // 0000000043F0: D2890008 000161EB
	s_and_b32 s9, s9, 0xffff                                   // 0000000043F8: 8609FF09 0000FFFF
	s_add_u32 s8, s84, s8                                      // 000000004400: 80080854
	s_addc_u32 s9, 0, s9                                       // 000000004404: 82090980
	s_store_dword s85, s[8:9], 0x0 glc                         // 000000004408: C0431544 00000000
	v_readlane_b32 s13, v235, 51                               // 000000004410: D289000D 000167EB
	v_readlane_b32 s12, v235, 50                               // 000000004418: D289000C 000165EB
	s_and_b32 s13, s13, 0xffff                                 // 000000004420: 860DFF0D 0000FFFF
	s_add_u32 s12, s84, s12                                    // 000000004428: 800C0C54
	s_addc_u32 s13, 0, s13                                     // 00000000442C: 820D0D80
	s_store_dword s85, s[12:13], 0x0 glc                       // 000000004430: C0431546 00000000
	v_readlane_b32 s17, v235, 53                               // 000000004438: D2890011 00016BEB
	v_readlane_b32 s16, v235, 52                               // 000000004440: D2890010 000169EB
	s_and_b32 s17, s17, 0xffff                                 // 000000004448: 8611FF11 0000FFFF
	s_add_u32 s16, s84, s16                                    // 000000004450: 80101054
	s_addc_u32 s17, 0, s17                                     // 000000004454: 82111180
	s_store_dword s85, s[16:17], 0x0 glc                       // 000000004458: C0431548 00000000
	v_readlane_b32 s21, v235, 55                               // 000000004460: D2890015 00016FEB
	v_readlane_b32 s20, v235, 54                               // 000000004468: D2890014 00016DEB
	s_and_b32 s21, s21, 0xffff                                 // 000000004470: 8615FF15 0000FFFF
	s_add_u32 s20, s84, s20                                    // 000000004478: 80141454
	s_addc_u32 s21, 0, s21                                     // 00000000447C: 82151580
	s_store_dword s85, s[20:21], 0x0 glc                       // 000000004480: C043154A 00000000
	v_readlane_b32 s25, v235, 57                               // 000000004488: D2890019 000173EB
	v_readlane_b32 s24, v235, 56                               // 000000004490: D2890018 000171EB
	s_and_b32 s25, s25, 0xffff                                 // 000000004498: 8619FF19 0000FFFF
	s_add_u32 s24, s84, s24                                    // 0000000044A0: 80181854
	s_addc_u32 s25, 0, s25                                     // 0000000044A4: 82191980
	s_store_dword s85, s[24:25], 0x0 glc                       // 0000000044A8: C043154C 00000000
	v_readlane_b32 s29, v235, 59                               // 0000000044B0: D289001D 000177EB
	v_readlane_b32 s28, v235, 58                               // 0000000044B8: D289001C 000175EB
	s_and_b32 s29, s29, 0xffff                                 // 0000000044C0: 861DFF1D 0000FFFF
	s_add_u32 s28, s84, s28                                    // 0000000044C8: 801C1C54
	s_addc_u32 s29, 0, s29                                     // 0000000044CC: 821D1D80
	s_store_dword s85, s[28:29], 0x0 glc                       // 0000000044D0: C043154E 00000000
	v_readlane_b32 s33, v235, 61                               // 0000000044D8: D2890021 00017BEB
	v_readlane_b32 s32, v235, 60                               // 0000000044E0: D2890020 000179EB
	s_and_b32 s33, s33, 0xffff                                 // 0000000044E8: 8621FF21 0000FFFF
	s_add_u32 s32, s84, s32                                    // 0000000044F0: 80202054
	s_addc_u32 s33, 0, s33                                     // 0000000044F4: 82212180
	s_store_dword s85, s[32:33], 0x0 glc                       // 0000000044F8: C0431550 00000000
	v_readlane_b32 s37, v235, 63                               // 000000004500: D2890025 00017FEB
	v_readlane_b32 s36, v235, 62                               // 000000004508: D2890024 00017DEB
	s_and_b32 s37, s37, 0xffff                                 // 000000004510: 8625FF25 0000FFFF
	s_add_u32 s36, s84, s36                                    // 000000004518: 80242454
	s_addc_u32 s37, 0, s37                                     // 00000000451C: 82252580
	s_store_dword s85, s[36:37], 0x0 glc                       // 000000004520: C0431552 00000000
	v_rcp_f32_e32 v216, v232                                   // 000000004528: 7FB045E8
	s_nop 2                                                    // 00000000452C: BF800002
	v_mov_b32_e32 v217, v216                                   // 000000004530: 7FB203D8
	s_mov_b32 s84, 0x800                                       // 000000004534: BED400FF 00000800
	s_mov_b32 s3, 0x400                                        // 00000000453C: BE8300FF 00000400
	s_mov_b32 s4, 0x40100                                      // 000000004544: BE8400FF 00040100
	s_mov_b32 s58, 0x4020100                                   // 00000000454C: BEBA00FF 04020100
	v_pk_mul_f32 v[4:5], v[4:5], v[216:217]                    // 000000004554: D3B14004 1803B104
	v_pk_mul_f32 v[6:7], v[6:7], v[216:217]                    // 00000000455C: D3B14006 1803B106
	v_pk_mul_f32 v[20:21], v[20:21], v[216:217]                // 000000004564: D3B14014 1803B114
	v_pk_mul_f32 v[22:23], v[22:23], v[216:217]                // 00000000456C: D3B14016 1803B116
	v_cvt_i32_f32_e32 v4, v4                                   // 000000004574: 7E081104
	v_cvt_i32_f32_e32 v5, v5                                   // 000000004578: 7E0A1105
	v_cvt_i32_f32_e32 v6, v6                                   // 00000000457C: 7E0C1106
	v_cvt_i32_f32_e32 v7, v7                                   // 000000004580: 7E0E1107
	v_cvt_i32_f32_e32 v20, v20                                 // 000000004584: 7E281114
	v_cvt_i32_f32_e32 v21, v21                                 // 000000004588: 7E2A1115
	v_cvt_i32_f32_e32 v22, v22                                 // 00000000458C: 7E2C1116
	v_cvt_i32_f32_e32 v23, v23                                 // 000000004590: 7E2E1117
	v_perm_b32 v4, v20, v4, s3                                 // 000000004594: D1ED0004 000E0914
	v_perm_b32 v4, v5, v4, s4                                  // 00000000459C: D1ED0004 00120905
	v_perm_b32 v4, v21, v4, s58                                // 0000000045A4: D1ED0004 00EA0915
	v_perm_b32 v5, v22, v6, s3                                 // 0000000045AC: D1ED0005 000E0D16
	v_perm_b32 v5, v7, v5, s4                                  // 0000000045B4: D1ED0005 00120B07
	v_perm_b32 v5, v23, v5, s58                                // 0000000045BC: D1ED0005 00EA0B17
	v_readlane_b32 s9, v235, 17                                // 0000000045C4: D2890009 000123EB
	v_readlane_b32 s8, v235, 16                                // 0000000045CC: D2890008 000121EB
	s_and_b32 s9, s9, 0xffff                                   // 0000000045D4: 8609FF09 0000FFFF
	s_or_b32 s9, s9, 0x40000                                   // 0000000045DC: 8709FF09 00040000
	buffer_store_dword v4, v233, s[8:11], 0 offen              // 0000000045E4: E0701000 800204E9
	buffer_store_dword v5, v233, s[8:11], 0 offen offset:4     // 0000000045EC: E0701004 800205E9
	v_readlane_b32 s13, v235, 19                               // 0000000045F4: D289000D 000127EB
	v_readlane_b32 s12, v235, 18                               // 0000000045FC: D289000C 000125EB
	s_and_b32 s13, s13, 0xffff                                 // 000000004604: 860DFF0D 0000FFFF
	s_or_b32 s13, s13, 0x40000                                 // 00000000460C: 870DFF0D 00040000
	buffer_store_dword v4, v233, s[12:15], 0 offen             // 000000004614: E0701000 800304E9
	buffer_store_dword v5, v233, s[12:15], 0 offen offset:4    // 00000000461C: E0701004 800305E9
	v_readlane_b32 s17, v235, 21                               // 000000004624: D2890011 00012BEB
	v_readlane_b32 s16, v235, 20                               // 00000000462C: D2890010 000129EB
	s_and_b32 s17, s17, 0xffff                                 // 000000004634: 8611FF11 0000FFFF
	s_or_b32 s17, s17, 0x40000                                 // 00000000463C: 8711FF11 00040000
	buffer_store_dword v4, v233, s[16:19], 0 offen             // 000000004644: E0701000 800404E9
	buffer_store_dword v5, v233, s[16:19], 0 offen offset:4    // 00000000464C: E0701004 800405E9
	v_readlane_b32 s21, v235, 23                               // 000000004654: D2890015 00012FEB
	v_readlane_b32 s20, v235, 22                               // 00000000465C: D2890014 00012DEB
	s_and_b32 s21, s21, 0xffff                                 // 000000004664: 8615FF15 0000FFFF
	s_or_b32 s21, s21, 0x40000                                 // 00000000466C: 8715FF15 00040000
	buffer_store_dword v4, v233, s[20:23], 0 offen             // 000000004674: E0701000 800504E9
	buffer_store_dword v5, v233, s[20:23], 0 offen offset:4    // 00000000467C: E0701004 800505E9
	v_readlane_b32 s25, v235, 25                               // 000000004684: D2890019 000133EB
	v_readlane_b32 s24, v235, 24                               // 00000000468C: D2890018 000131EB
	s_and_b32 s25, s25, 0xffff                                 // 000000004694: 8619FF19 0000FFFF
	s_or_b32 s25, s25, 0x40000                                 // 00000000469C: 8719FF19 00040000
	buffer_store_dword v4, v233, s[24:27], 0 offen             // 0000000046A4: E0701000 800604E9
	buffer_store_dword v5, v233, s[24:27], 0 offen offset:4    // 0000000046AC: E0701004 800605E9
	v_readlane_b32 s29, v235, 27                               // 0000000046B4: D289001D 000137EB
	v_readlane_b32 s28, v235, 26                               // 0000000046BC: D289001C 000135EB
	s_and_b32 s29, s29, 0xffff                                 // 0000000046C4: 861DFF1D 0000FFFF
	s_or_b32 s29, s29, 0x40000                                 // 0000000046CC: 871DFF1D 00040000
	buffer_store_dword v4, v233, s[28:31], 0 offen             // 0000000046D4: E0701000 800704E9
	buffer_store_dword v5, v233, s[28:31], 0 offen offset:4    // 0000000046DC: E0701004 800705E9
	v_readlane_b32 s33, v235, 29                               // 0000000046E4: D2890021 00013BEB
	v_readlane_b32 s32, v235, 28                               // 0000000046EC: D2890020 000139EB
	s_and_b32 s33, s33, 0xffff                                 // 0000000046F4: 8621FF21 0000FFFF
	s_or_b32 s33, s33, 0x40000                                 // 0000000046FC: 8721FF21 00040000
	buffer_store_dword v4, v233, s[32:35], 0 offen             // 000000004704: E0701000 800804E9
	buffer_store_dword v5, v233, s[32:35], 0 offen offset:4    // 00000000470C: E0701004 800805E9
	v_readlane_b32 s37, v235, 31                               // 000000004714: D2890025 00013FEB
	v_readlane_b32 s36, v235, 30                               // 00000000471C: D2890024 00013DEB
	s_and_b32 s37, s37, 0xffff                                 // 000000004724: 8625FF25 0000FFFF
	s_or_b32 s37, s37, 0x40000                                 // 00000000472C: 8725FF25 00040000
	buffer_store_dword v4, v233, s[36:39], 0 offen             // 000000004734: E0701000 800904E9
	buffer_store_dword v5, v233, s[36:39], 0 offen offset:4    // 00000000473C: E0701004 800905E9
	v_add_u32_e64 v233, v233, s84                              // 000000004744: D13400E9 0000A9E9
	v_pk_mul_f32 v[8:9], v[8:9], v[216:217]                    // 00000000474C: D3B14008 1803B108
	v_pk_mul_f32 v[10:11], v[10:11], v[216:217]                // 000000004754: D3B1400A 1803B10A
	v_pk_mul_f32 v[24:25], v[24:25], v[216:217]                // 00000000475C: D3B14018 1803B118
	v_pk_mul_f32 v[26:27], v[26:27], v[216:217]                // 000000004764: D3B1401A 1803B11A
	v_cvt_i32_f32_e32 v8, v8                                   // 00000000476C: 7E101108
	v_cvt_i32_f32_e32 v9, v9                                   // 000000004770: 7E121109
	v_cvt_i32_f32_e32 v10, v10                                 // 000000004774: 7E14110A
	v_cvt_i32_f32_e32 v11, v11                                 // 000000004778: 7E16110B
	v_cvt_i32_f32_e32 v24, v24                                 // 00000000477C: 7E301118
	v_cvt_i32_f32_e32 v25, v25                                 // 000000004780: 7E321119
	v_cvt_i32_f32_e32 v26, v26                                 // 000000004784: 7E34111A
	v_cvt_i32_f32_e32 v27, v27                                 // 000000004788: 7E36111B
	v_perm_b32 v8, v24, v8, s3                                 // 00000000478C: D1ED0008 000E1118
	v_perm_b32 v8, v9, v8, s4                                  // 000000004794: D1ED0008 00121109
	v_perm_b32 v8, v25, v8, s58                                // 00000000479C: D1ED0008 00EA1119
	v_perm_b32 v9, v26, v10, s3                                // 0000000047A4: D1ED0009 000E151A
	v_perm_b32 v9, v11, v9, s4                                 // 0000000047AC: D1ED0009 0012130B
	v_perm_b32 v9, v27, v9, s58                                // 0000000047B4: D1ED0009 00EA131B
	buffer_store_dword v8, v233, s[8:11], 0 offen              // 0000000047BC: E0701000 800208E9
	buffer_store_dword v9, v233, s[8:11], 0 offen offset:4     // 0000000047C4: E0701004 800209E9
	buffer_store_dword v8, v233, s[12:15], 0 offen             // 0000000047CC: E0701000 800308E9
	buffer_store_dword v9, v233, s[12:15], 0 offen offset:4    // 0000000047D4: E0701004 800309E9
	buffer_store_dword v8, v233, s[16:19], 0 offen             // 0000000047DC: E0701000 800408E9
	buffer_store_dword v9, v233, s[16:19], 0 offen offset:4    // 0000000047E4: E0701004 800409E9
	buffer_store_dword v8, v233, s[20:23], 0 offen             // 0000000047EC: E0701000 800508E9
	buffer_store_dword v9, v233, s[20:23], 0 offen offset:4    // 0000000047F4: E0701004 800509E9
	buffer_store_dword v8, v233, s[24:27], 0 offen             // 0000000047FC: E0701000 800608E9
	buffer_store_dword v9, v233, s[24:27], 0 offen offset:4    // 000000004804: E0701004 800609E9
	buffer_store_dword v8, v233, s[28:31], 0 offen             // 00000000480C: E0701000 800708E9
	buffer_store_dword v9, v233, s[28:31], 0 offen offset:4    // 000000004814: E0701004 800709E9
	buffer_store_dword v8, v233, s[32:35], 0 offen             // 00000000481C: E0701000 800808E9
	buffer_store_dword v9, v233, s[32:35], 0 offen offset:4    // 000000004824: E0701004 800809E9
	buffer_store_dword v8, v233, s[36:39], 0 offen             // 00000000482C: E0701000 800908E9
	buffer_store_dword v9, v233, s[36:39], 0 offen offset:4    // 000000004834: E0701004 800909E9
	v_add_u32_e64 v233, v233, s84                              // 00000000483C: D13400E9 0000A9E9
	v_pk_mul_f32 v[12:13], v[12:13], v[216:217]                // 000000004844: D3B1400C 1803B10C
	v_pk_mul_f32 v[14:15], v[14:15], v[216:217]                // 00000000484C: D3B1400E 1803B10E
	v_pk_mul_f32 v[28:29], v[28:29], v[216:217]                // 000000004854: D3B1401C 1803B11C
	v_pk_mul_f32 v[30:31], v[30:31], v[216:217]                // 00000000485C: D3B1401E 1803B11E
	v_cvt_i32_f32_e32 v12, v12                                 // 000000004864: 7E18110C
	v_cvt_i32_f32_e32 v13, v13                                 // 000000004868: 7E1A110D
	v_cvt_i32_f32_e32 v14, v14                                 // 00000000486C: 7E1C110E
	v_cvt_i32_f32_e32 v15, v15                                 // 000000004870: 7E1E110F
	v_cvt_i32_f32_e32 v28, v28                                 // 000000004874: 7E38111C
	v_cvt_i32_f32_e32 v29, v29                                 // 000000004878: 7E3A111D
	v_cvt_i32_f32_e32 v30, v30                                 // 00000000487C: 7E3C111E
	v_cvt_i32_f32_e32 v31, v31                                 // 000000004880: 7E3E111F
	v_perm_b32 v12, v28, v12, s3                               // 000000004884: D1ED000C 000E191C
	v_perm_b32 v12, v13, v12, s4                               // 00000000488C: D1ED000C 0012190D
	v_perm_b32 v12, v29, v12, s58                              // 000000004894: D1ED000C 00EA191D
	v_perm_b32 v13, v30, v14, s3                               // 00000000489C: D1ED000D 000E1D1E
	v_perm_b32 v13, v15, v13, s4                               // 0000000048A4: D1ED000D 00121B0F
	v_perm_b32 v13, v31, v13, s58                              // 0000000048AC: D1ED000D 00EA1B1F
	buffer_store_dword v12, v233, s[8:11], 0 offen             // 0000000048B4: E0701000 80020CE9
	buffer_store_dword v13, v233, s[8:11], 0 offen offset:4    // 0000000048BC: E0701004 80020DE9
	buffer_store_dword v12, v233, s[12:15], 0 offen            // 0000000048C4: E0701000 80030CE9
	buffer_store_dword v13, v233, s[12:15], 0 offen offset:4   // 0000000048CC: E0701004 80030DE9
	buffer_store_dword v12, v233, s[16:19], 0 offen            // 0000000048D4: E0701000 80040CE9
	buffer_store_dword v13, v233, s[16:19], 0 offen offset:4   // 0000000048DC: E0701004 80040DE9
	buffer_store_dword v12, v233, s[20:23], 0 offen            // 0000000048E4: E0701000 80050CE9
	buffer_store_dword v13, v233, s[20:23], 0 offen offset:4   // 0000000048EC: E0701004 80050DE9
	buffer_store_dword v12, v233, s[24:27], 0 offen            // 0000000048F4: E0701000 80060CE9
	buffer_store_dword v13, v233, s[24:27], 0 offen offset:4   // 0000000048FC: E0701004 80060DE9
	buffer_store_dword v12, v233, s[28:31], 0 offen            // 000000004904: E0701000 80070CE9
	buffer_store_dword v13, v233, s[28:31], 0 offen offset:4   // 00000000490C: E0701004 80070DE9
	buffer_store_dword v12, v233, s[32:35], 0 offen            // 000000004914: E0701000 80080CE9
	buffer_store_dword v13, v233, s[32:35], 0 offen offset:4   // 00000000491C: E0701004 80080DE9
	buffer_store_dword v12, v233, s[36:39], 0 offen            // 000000004924: E0701000 80090CE9
	buffer_store_dword v13, v233, s[36:39], 0 offen offset:4   // 00000000492C: E0701004 80090DE9
	v_add_u32_e64 v233, v233, s84                              // 000000004934: D13400E9 0000A9E9
	v_pk_mul_f32 v[16:17], v[16:17], v[216:217]                // 00000000493C: D3B14010 1803B110
	v_pk_mul_f32 v[18:19], v[18:19], v[216:217]                // 000000004944: D3B14012 1803B112
	v_pk_mul_f32 v[32:33], v[32:33], v[216:217]                // 00000000494C: D3B14020 1803B120
	v_pk_mul_f32 v[34:35], v[34:35], v[216:217]                // 000000004954: D3B14022 1803B122
	v_cvt_i32_f32_e32 v16, v16                                 // 00000000495C: 7E201110
	v_cvt_i32_f32_e32 v17, v17                                 // 000000004960: 7E221111
	v_cvt_i32_f32_e32 v18, v18                                 // 000000004964: 7E241112
	v_cvt_i32_f32_e32 v19, v19                                 // 000000004968: 7E261113
	v_cvt_i32_f32_e32 v32, v32                                 // 00000000496C: 7E401120
	v_cvt_i32_f32_e32 v33, v33                                 // 000000004970: 7E421121
	v_cvt_i32_f32_e32 v34, v34                                 // 000000004974: 7E441122
	v_cvt_i32_f32_e32 v35, v35                                 // 000000004978: 7E461123
	v_perm_b32 v16, v32, v16, s3                               // 00000000497C: D1ED0010 000E2120
	v_perm_b32 v16, v17, v16, s4                               // 000000004984: D1ED0010 00122111
	v_perm_b32 v16, v33, v16, s58                              // 00000000498C: D1ED0010 00EA2121
	v_perm_b32 v17, v34, v18, s3                               // 000000004994: D1ED0011 000E2522
	v_perm_b32 v17, v19, v17, s4                               // 00000000499C: D1ED0011 00122313
	v_perm_b32 v17, v35, v17, s58                              // 0000000049A4: D1ED0011 00EA2323
	buffer_store_dword v16, v233, s[8:11], 0 offen             // 0000000049AC: E0701000 800210E9
	buffer_store_dword v17, v233, s[8:11], 0 offen offset:4    // 0000000049B4: E0701004 800211E9
	buffer_store_dword v16, v233, s[12:15], 0 offen            // 0000000049BC: E0701000 800310E9
	buffer_store_dword v17, v233, s[12:15], 0 offen offset:4   // 0000000049C4: E0701004 800311E9
	buffer_store_dword v16, v233, s[16:19], 0 offen            // 0000000049CC: E0701000 800410E9
	buffer_store_dword v17, v233, s[16:19], 0 offen offset:4   // 0000000049D4: E0701004 800411E9
	buffer_store_dword v16, v233, s[20:23], 0 offen            // 0000000049DC: E0701000 800510E9
	buffer_store_dword v17, v233, s[20:23], 0 offen offset:4   // 0000000049E4: E0701004 800511E9
	buffer_store_dword v16, v233, s[24:27], 0 offen            // 0000000049EC: E0701000 800610E9
	buffer_store_dword v17, v233, s[24:27], 0 offen offset:4   // 0000000049F4: E0701004 800611E9
	buffer_store_dword v16, v233, s[28:31], 0 offen            // 0000000049FC: E0701000 800710E9
	buffer_store_dword v17, v233, s[28:31], 0 offen offset:4   // 000000004A04: E0701004 800711E9
	buffer_store_dword v16, v233, s[32:35], 0 offen            // 000000004A0C: E0701000 800810E9
	buffer_store_dword v17, v233, s[32:35], 0 offen offset:4   // 000000004A14: E0701004 800811E9
	buffer_store_dword v16, v233, s[36:39], 0 offen            // 000000004A1C: E0701000 800910E9
	buffer_store_dword v17, v233, s[36:39], 0 offen offset:4   // 000000004A24: E0701004 800911E9
	v_add_u32_e64 v233, v233, s84                              // 000000004A2C: D13400E9 0000A9E9
	s_waitcnt lgkmcnt(0)                                       // 000000004A34: BF8CC07F
	s_waitcnt vmcnt(14)                                        // 000000004A38: BF8C0F7E
	s_add_i32 s84, s93, 4                                      // 000000004A3C: 8154845D
	s_atomic_inc s80, s[40:41], s84                            // 000000004A40: C22C1414 00000054
	s_waitcnt vmcnt(12)                                        // 000000004A48: BF8C0F7C
	s_add_i32 s84, s93, 4                                      // 000000004A4C: 8154845D
	s_atomic_inc s80, s[42:43], s84                            // 000000004A50: C22C1415 00000054
	s_waitcnt vmcnt(10)                                        // 000000004A58: BF8C0F7A
	s_add_i32 s84, s93, 4                                      // 000000004A5C: 8154845D
	s_atomic_inc s80, s[44:45], s84                            // 000000004A60: C22C1416 00000054
	s_waitcnt vmcnt(8)                                         // 000000004A68: BF8C0F78
	s_add_i32 s84, s93, 4                                      // 000000004A6C: 8154845D
	s_atomic_inc s80, s[46:47], s84                            // 000000004A70: C22C1417 00000054
	s_waitcnt vmcnt(6)                                         // 000000004A78: BF8C0F76
	s_add_i32 s84, s93, 4                                      // 000000004A7C: 8154845D
	s_atomic_inc s80, s[48:49], s84                            // 000000004A80: C22C1418 00000054
	s_waitcnt vmcnt(4)                                         // 000000004A88: BF8C0F74
	s_add_i32 s84, s93, 4                                      // 000000004A8C: 8154845D
	s_atomic_inc s80, s[50:51], s84                            // 000000004A90: C22C1419 00000054
	s_waitcnt vmcnt(2)                                         // 000000004A98: BF8C0F72
	s_add_i32 s84, s93, 4                                      // 000000004A9C: 8154845D
	s_atomic_inc s80, s[52:53], s84                            // 000000004AA0: C22C141A 00000054
	s_waitcnt vmcnt(0)                                         // 000000004AA8: BF8C0F70
	s_add_i32 s84, s93, 4                                      // 000000004AAC: 8154845D
	s_atomic_inc s80, s[54:55], s84                            // 000000004AB0: C22C141B 00000054
	s_mov_b32 s81, 0xff                                        // 000000004AB8: BED100FF 000000FF

0000000000004ac0 <label_09B0>:
	s_cmp_eq_u32 s81, 0                                        // 000000004AC0: BF068051
	s_cbranch_scc1 label_0A32                                  // 000000004AC4: BF850080
	s_mov_b32 s7, 0                                            // 000000004AC8: BE870080

0000000000004acc <label_09B3>:
	s_nop 15                                                   // 000000004ACC: BF80000F
	s_addk_i32 s7, 0x1                                         // 000000004AD0: B7070001
	s_cmp_lt_i32 s7, s6                                        // 000000004AD4: BF040607
	s_cbranch_scc0 label_09B8                                  // 000000004AD8: BF840001
	s_branch label_09B3                                        // 000000004ADC: BF82FFFB

0000000000004ae0 <label_09B8>:
	s_lshl_b32 s84, s82, 0                                     // 000000004AE0: 8E548052
	s_nor_b32 s85, s84, 0                                      // 000000004AE4: 8C558054
	s_and_b32 s86, s84, s81                                    // 000000004AE8: 86565154
	s_cmp_eq_u32 s86, 0                                        // 000000004AEC: BF068056
	s_cbranch_scc1 label_09C2                                  // 000000004AF0: BF850005
	s_mul_i32 s84, s92, 0                                      // 000000004AF4: 9254805C
	s_add_i32 s85, s94, s84                                    // 000000004AF8: 8155545E
	s_add_i32 s85, s85, 4                                      // 000000004AFC: 81558455
	s_load_dword s72, s[56:57], s85 glc                        // 000000004B00: C001121C 00000055

0000000000004b08 <label_09C2>:
	s_lshl_b32 s84, s82, 1                                     // 000000004B08: 8E548152
	s_nor_b32 s85, s84, 0                                      // 000000004B0C: 8C558054
	s_and_b32 s86, s84, s81                                    // 000000004B10: 86565154
	s_cmp_eq_u32 s86, 0                                        // 000000004B14: BF068056
	s_cbranch_scc1 label_09CC                                  // 000000004B18: BF850005
	s_mul_i32 s84, s92, 1                                      // 000000004B1C: 9254815C
	s_add_i32 s85, s94, s84                                    // 000000004B20: 8155545E
	s_add_i32 s85, s85, 4                                      // 000000004B24: 81558455
	s_load_dword s73, s[56:57], s85 glc                        // 000000004B28: C001125C 00000055

0000000000004b30 <label_09CC>:
	s_lshl_b32 s84, s82, 2                                     // 000000004B30: 8E548252
	s_nor_b32 s85, s84, 0                                      // 000000004B34: 8C558054
	s_and_b32 s86, s84, s81                                    // 000000004B38: 86565154
	s_cmp_eq_u32 s86, 0                                        // 000000004B3C: BF068056
	s_cbranch_scc1 label_09D6                                  // 000000004B40: BF850005
	s_mul_i32 s84, s92, 2                                      // 000000004B44: 9254825C
	s_add_i32 s85, s94, s84                                    // 000000004B48: 8155545E
	s_add_i32 s85, s85, 4                                      // 000000004B4C: 81558455
	s_load_dword s74, s[56:57], s85 glc                        // 000000004B50: C001129C 00000055

0000000000004b58 <label_09D6>:
	s_lshl_b32 s84, s82, 3                                     // 000000004B58: 8E548352
	s_nor_b32 s85, s84, 0                                      // 000000004B5C: 8C558054
	s_and_b32 s86, s84, s81                                    // 000000004B60: 86565154
	s_cmp_eq_u32 s86, 0                                        // 000000004B64: BF068056
	s_cbranch_scc1 label_09E0                                  // 000000004B68: BF850005
	s_mul_i32 s84, s92, 3                                      // 000000004B6C: 9254835C
	s_add_i32 s85, s94, s84                                    // 000000004B70: 8155545E
	s_add_i32 s85, s85, 4                                      // 000000004B74: 81558455
	s_load_dword s75, s[56:57], s85 glc                        // 000000004B78: C00112DC 00000055

0000000000004b80 <label_09E0>:
	s_lshl_b32 s84, s82, 4                                     // 000000004B80: 8E548452
	s_nor_b32 s85, s84, 0                                      // 000000004B84: 8C558054
	s_and_b32 s86, s84, s81                                    // 000000004B88: 86565154
	s_cmp_eq_u32 s86, 0                                        // 000000004B8C: BF068056
	s_cbranch_scc1 label_09EA                                  // 000000004B90: BF850005
	s_mul_i32 s84, s92, 4                                      // 000000004B94: 9254845C
	s_add_i32 s85, s94, s84                                    // 000000004B98: 8155545E
	s_add_i32 s85, s85, 4                                      // 000000004B9C: 81558455
	s_load_dword s76, s[56:57], s85 glc                        // 000000004BA0: C001131C 00000055

0000000000004ba8 <label_09EA>:
	s_lshl_b32 s84, s82, 5                                     // 000000004BA8: 8E548552
	s_nor_b32 s85, s84, 0                                      // 000000004BAC: 8C558054
	s_and_b32 s86, s84, s81                                    // 000000004BB0: 86565154
	s_cmp_eq_u32 s86, 0                                        // 000000004BB4: BF068056
	s_cbranch_scc1 label_09F4                                  // 000000004BB8: BF850005
	s_mul_i32 s84, s92, 5                                      // 000000004BBC: 9254855C
	s_add_i32 s85, s94, s84                                    // 000000004BC0: 8155545E
	s_add_i32 s85, s85, 4                                      // 000000004BC4: 81558455
	s_load_dword s77, s[56:57], s85 glc                        // 000000004BC8: C001135C 00000055

0000000000004bd0 <label_09F4>:
	s_lshl_b32 s84, s82, 6                                     // 000000004BD0: 8E548652
	s_nor_b32 s85, s84, 0                                      // 000000004BD4: 8C558054
	s_and_b32 s86, s84, s81                                    // 000000004BD8: 86565154
	s_cmp_eq_u32 s86, 0                                        // 000000004BDC: BF068056
	s_cbranch_scc1 label_09FE                                  // 000000004BE0: BF850005
	s_mul_i32 s84, s92, 6                                      // 000000004BE4: 9254865C
	s_add_i32 s85, s94, s84                                    // 000000004BE8: 8155545E
	s_add_i32 s85, s85, 4                                      // 000000004BEC: 81558455
	s_load_dword s78, s[56:57], s85 glc                        // 000000004BF0: C001139C 00000055

0000000000004bf8 <label_09FE>:
	s_lshl_b32 s84, s82, 7                                     // 000000004BF8: 8E548752
	s_nor_b32 s85, s84, 0                                      // 000000004BFC: 8C558054
	s_and_b32 s86, s84, s81                                    // 000000004C00: 86565154
	s_cmp_eq_u32 s86, 0                                        // 000000004C04: BF068056
	s_cbranch_scc1 label_0A08                                  // 000000004C08: BF850005
	s_mul_i32 s84, s92, 7                                      // 000000004C0C: 9254875C
	s_add_i32 s85, s94, s84                                    // 000000004C10: 8155545E
	s_add_i32 s85, s85, 4                                      // 000000004C14: 81558455
	s_load_dword s79, s[56:57], s85 glc                        // 000000004C18: C00113DC 00000055

0000000000004c20 <label_0A08>:
	s_waitcnt lgkmcnt(0)                                       // 000000004C20: BF8CC07F
	s_lshl_b32 s84, s82, 0                                     // 000000004C24: 8E548052
	s_nor_b32 s85, s84, 0                                      // 000000004C28: 8C558054
	s_cmp_eq_u32 s72, 4                                        // 000000004C2C: BF068448
	s_cbranch_scc0 label_0A0E                                  // 000000004C30: BF840001
	s_and_b32 s81, s85, s81                                    // 000000004C34: 86515155

0000000000004c38 <label_0A0E>:
	s_lshl_b32 s84, s82, 1                                     // 000000004C38: 8E548152
	s_nor_b32 s85, s84, 0                                      // 000000004C3C: 8C558054
	s_cmp_eq_u32 s73, 4                                        // 000000004C40: BF068449
	s_cbranch_scc0 label_0A13                                  // 000000004C44: BF840001
	s_and_b32 s81, s85, s81                                    // 000000004C48: 86515155

0000000000004c4c <label_0A13>:
	s_lshl_b32 s84, s82, 2                                     // 000000004C4C: 8E548252
	s_nor_b32 s85, s84, 0                                      // 000000004C50: 8C558054
	s_cmp_eq_u32 s74, 4                                        // 000000004C54: BF06844A
	s_cbranch_scc0 label_0A18                                  // 000000004C58: BF840001
	s_and_b32 s81, s85, s81                                    // 000000004C5C: 86515155

0000000000004c60 <label_0A18>:
	s_lshl_b32 s84, s82, 3                                     // 000000004C60: 8E548352
	s_nor_b32 s85, s84, 0                                      // 000000004C64: 8C558054
	s_cmp_eq_u32 s75, 4                                        // 000000004C68: BF06844B
	s_cbranch_scc0 label_0A1D                                  // 000000004C6C: BF840001
	s_and_b32 s81, s85, s81                                    // 000000004C70: 86515155

0000000000004c74 <label_0A1D>:
	s_lshl_b32 s84, s82, 4                                     // 000000004C74: 8E548452
	s_nor_b32 s85, s84, 0                                      // 000000004C78: 8C558054
	s_cmp_eq_u32 s76, 4                                        // 000000004C7C: BF06844C
	s_cbranch_scc0 label_0A22                                  // 000000004C80: BF840001
	s_and_b32 s81, s85, s81                                    // 000000004C84: 86515155

0000000000004c88 <label_0A22>:
	s_lshl_b32 s84, s82, 5                                     // 000000004C88: 8E548552
	s_nor_b32 s85, s84, 0                                      // 000000004C8C: 8C558054
	s_cmp_eq_u32 s77, 4                                        // 000000004C90: BF06844D
	s_cbranch_scc0 label_0A27                                  // 000000004C94: BF840001
	s_and_b32 s81, s85, s81                                    // 000000004C98: 86515155

0000000000004c9c <label_0A27>:
	s_lshl_b32 s84, s82, 6                                     // 000000004C9C: 8E548652
	s_nor_b32 s85, s84, 0                                      // 000000004CA0: 8C558054
	s_cmp_eq_u32 s78, 4                                        // 000000004CA4: BF06844E
	s_cbranch_scc0 label_0A2C                                  // 000000004CA8: BF840001
	s_and_b32 s81, s85, s81                                    // 000000004CAC: 86515155

0000000000004cb0 <label_0A2C>:
	s_lshl_b32 s84, s82, 7                                     // 000000004CB0: 8E548752
	s_nor_b32 s85, s84, 0                                      // 000000004CB4: 8C558054
	s_cmp_eq_u32 s79, 4                                        // 000000004CB8: BF06844F
	s_cbranch_scc0 label_0A31                                  // 000000004CBC: BF840001
	s_and_b32 s81, s85, s81                                    // 000000004CC0: 86515155

0000000000004cc4 <label_0A31>:
	s_branch label_09B0                                        // 000000004CC4: BF82FF7E

0000000000004cc8 <label_0A32>:
	s_cmp_eq_u32 s5, 0                                         // 000000004CC8: BF068005
	s_cbranch_scc0 label_0A56                                  // 000000004CCC: BF840022
	s_cmp_eq_u32 s2, 0                                         // 000000004CD0: BF068002
	s_cbranch_scc0 label_0A56                                  // 000000004CD4: BF840020
	s_mul_i32 s86, s92, 0                                      // 000000004CD8: 9256805C
	s_mov_b32 s84, 0                                           // 000000004CDC: BED40080
	s_store_dword s84, s[56:57], s86 glc                       // 000000004CE0: C041151C 00000056
	s_mul_i32 s86, s92, 1                                      // 000000004CE8: 9256815C
	s_mov_b32 s84, 0                                           // 000000004CEC: BED40080
	s_store_dword s84, s[56:57], s86 glc                       // 000000004CF0: C041151C 00000056
	s_mul_i32 s86, s92, 2                                      // 000000004CF8: 9256825C
	s_mov_b32 s84, 0                                           // 000000004CFC: BED40080
	s_store_dword s84, s[56:57], s86 glc                       // 000000004D00: C041151C 00000056
	s_mul_i32 s86, s92, 3                                      // 000000004D08: 9256835C
	s_mov_b32 s84, 0                                           // 000000004D0C: BED40080
	s_store_dword s84, s[56:57], s86 glc                       // 000000004D10: C041151C 00000056
	s_mul_i32 s86, s92, 4                                      // 000000004D18: 9256845C
	s_mov_b32 s84, 0                                           // 000000004D1C: BED40080
	s_store_dword s84, s[56:57], s86 glc                       // 000000004D20: C041151C 00000056
	s_mul_i32 s86, s92, 5                                      // 000000004D28: 9256855C
	s_mov_b32 s84, 0                                           // 000000004D2C: BED40080
	s_store_dword s84, s[56:57], s86 glc                       // 000000004D30: C041151C 00000056
	s_mul_i32 s86, s92, 6                                      // 000000004D38: 9256865C
	s_mov_b32 s84, 0                                           // 000000004D3C: BED40080
	s_store_dword s84, s[56:57], s86 glc                       // 000000004D40: C041151C 00000056
	s_mul_i32 s86, s92, 7                                      // 000000004D48: 9256875C
	s_mov_b32 s84, 0                                           // 000000004D4C: BED40080
	s_store_dword s84, s[56:57], s86 glc                       // 000000004D50: C041151C 00000056

0000000000004d58 <label_0A56>:
	s_barrier                                                  // 000000004D58: BF8A0000
	s_cmp_eq_u32 s5, 0                                         // 000000004D5C: BF068005
	s_cbranch_scc0 label_0A91                                  // 000000004D60: BF840038
	s_mul_i32 s84, s92, 0                                      // 000000004D64: 9254805C
	s_add_i32 s86, s94, s84                                    // 000000004D68: 8156545E
	s_mov_b32 s84, 0                                           // 000000004D6C: BED40080
	s_mov_b32 s85, 0                                           // 000000004D70: BED50080
	s_add_i32 s86, s86, 4                                      // 000000004D74: 81568456
	s_store_dword s84, s[56:57], s86 glc                       // 000000004D78: C041151C 00000056
	s_mul_i32 s84, s92, 1                                      // 000000004D80: 9254815C
	s_add_i32 s86, s94, s84                                    // 000000004D84: 8156545E
	s_mov_b32 s84, 0                                           // 000000004D88: BED40080
	s_mov_b32 s85, 0                                           // 000000004D8C: BED50080
	s_add_i32 s86, s86, 4                                      // 000000004D90: 81568456
	s_store_dword s84, s[56:57], s86 glc                       // 000000004D94: C041151C 00000056
	s_mul_i32 s84, s92, 2                                      // 000000004D9C: 9254825C
	s_add_i32 s86, s94, s84                                    // 000000004DA0: 8156545E
	s_mov_b32 s84, 0                                           // 000000004DA4: BED40080
	s_mov_b32 s85, 0                                           // 000000004DA8: BED50080
	s_add_i32 s86, s86, 4                                      // 000000004DAC: 81568456
	s_store_dword s84, s[56:57], s86 glc                       // 000000004DB0: C041151C 00000056
	s_mul_i32 s84, s92, 3                                      // 000000004DB8: 9254835C
	s_add_i32 s86, s94, s84                                    // 000000004DBC: 8156545E
	s_mov_b32 s84, 0                                           // 000000004DC0: BED40080
	s_mov_b32 s85, 0                                           // 000000004DC4: BED50080
	s_add_i32 s86, s86, 4                                      // 000000004DC8: 81568456
	s_store_dword s84, s[56:57], s86 glc                       // 000000004DCC: C041151C 00000056
	s_mul_i32 s84, s92, 4                                      // 000000004DD4: 9254845C
	s_add_i32 s86, s94, s84                                    // 000000004DD8: 8156545E
	s_mov_b32 s84, 0                                           // 000000004DDC: BED40080
	s_mov_b32 s85, 0                                           // 000000004DE0: BED50080
	s_add_i32 s86, s86, 4                                      // 000000004DE4: 81568456
	s_store_dword s84, s[56:57], s86 glc                       // 000000004DE8: C041151C 00000056
	s_mul_i32 s84, s92, 5                                      // 000000004DF0: 9254855C
	s_add_i32 s86, s94, s84                                    // 000000004DF4: 8156545E
	s_mov_b32 s84, 0                                           // 000000004DF8: BED40080
	s_mov_b32 s85, 0                                           // 000000004DFC: BED50080
	s_add_i32 s86, s86, 4                                      // 000000004E00: 81568456
	s_store_dword s84, s[56:57], s86 glc                       // 000000004E04: C041151C 00000056
	s_mul_i32 s84, s92, 6                                      // 000000004E0C: 9254865C
	s_add_i32 s86, s94, s84                                    // 000000004E10: 8156545E
	s_mov_b32 s84, 0                                           // 000000004E14: BED40080
	s_mov_b32 s85, 0                                           // 000000004E18: BED50080
	s_add_i32 s86, s86, 4                                      // 000000004E1C: 81568456
	s_store_dword s84, s[56:57], s86 glc                       // 000000004E20: C041151C 00000056
	s_mul_i32 s84, s92, 7                                      // 000000004E28: 9254875C
	s_add_i32 s86, s94, s84                                    // 000000004E2C: 8156545E
	s_mov_b32 s84, 0                                           // 000000004E30: BED40080
	s_mov_b32 s85, 0                                           // 000000004E34: BED50080
	s_add_i32 s86, s86, 4                                      // 000000004E38: 81568456
	s_store_dword s84, s[56:57], s86 glc                       // 000000004E3C: C041151C 00000056

0000000000004e44 <label_0A91>:
	s_waitcnt vmcnt(0) expcnt(0) lgkmcnt(0)                    // 000000004E44: BF8C0000
	s_endpgm                                                   // 000000004E48: BF810000
